;; amdgpu-corpus repo=ROCm/rocFFT kind=compiled arch=gfx1201 opt=O3
	.text
	.amdgcn_target "amdgcn-amd-amdhsa--gfx1201"
	.amdhsa_code_object_version 6
	.protected	bluestein_single_fwd_len2000_dim1_sp_op_CI_CI ; -- Begin function bluestein_single_fwd_len2000_dim1_sp_op_CI_CI
	.globl	bluestein_single_fwd_len2000_dim1_sp_op_CI_CI
	.p2align	8
	.type	bluestein_single_fwd_len2000_dim1_sp_op_CI_CI,@function
bluestein_single_fwd_len2000_dim1_sp_op_CI_CI: ; @bluestein_single_fwd_len2000_dim1_sp_op_CI_CI
; %bb.0:
	s_load_b128 s[8:11], s[0:1], 0x28
	v_mul_u32_u24_e32 v1, 0x20d, v0
	s_mov_b32 s2, exec_lo
	v_mov_b32_e32 v131, 0
	s_delay_alu instid0(VALU_DEP_2) | instskip(NEXT) | instid1(VALU_DEP_1)
	v_lshrrev_b32_e32 v1, 16, v1
	v_add_nc_u32_e32 v130, ttmp9, v1
	s_wait_kmcnt 0x0
	s_delay_alu instid0(VALU_DEP_1)
	v_cmpx_gt_u64_e64 s[8:9], v[130:131]
	s_cbranch_execz .LBB0_31
; %bb.1:
	s_clause 0x1
	s_load_b128 s[4:7], s[0:1], 0x18
	s_load_b64 s[16:17], s[0:1], 0x0
	v_mul_lo_u16 v1, 0x7d, v1
	s_movk_i32 s2, 0xfa3d
	s_mov_b32 s3, -1
	s_delay_alu instid0(VALU_DEP_1) | instskip(NEXT) | instid1(VALU_DEP_1)
	v_sub_nc_u16 v39, v0, v1
	v_and_b32_e32 v173, 0xffff, v39
	s_wait_kmcnt 0x0
	s_load_b128 s[12:15], s[4:5], 0x0
	s_wait_kmcnt 0x0
	v_mad_co_u64_u32 v[0:1], null, s14, v130, 0
	v_mad_co_u64_u32 v[2:3], null, s12, v173, 0
	s_mul_u64 s[4:5], s[12:13], 0x190
	s_mul_u64 s[2:3], s[12:13], s[2:3]
	s_delay_alu instid0(SALU_CYCLE_1) | instskip(NEXT) | instid1(VALU_DEP_1)
	s_lshl_b64 s[2:3], s[2:3], 3
	v_mad_co_u64_u32 v[4:5], null, s15, v130, v[1:2]
	s_delay_alu instid0(VALU_DEP_1) | instskip(NEXT) | instid1(VALU_DEP_3)
	v_dual_mov_b32 v1, v4 :: v_dual_lshlrev_b32 v172, 3, v173
	v_mad_co_u64_u32 v[5:6], null, s13, v173, v[3:4]
	s_clause 0x5
	global_load_b64 v[145:146], v172, s[16:17]
	global_load_b64 v[133:134], v172, s[16:17] offset:1000
	global_load_b64 v[135:136], v172, s[16:17] offset:4200
	;; [unrolled: 1-line block ×5, first 2 shown]
	v_lshlrev_b64_e32 v[0:1], 3, v[0:1]
	s_clause 0x7
	global_load_b64 v[147:148], v172, s[16:17] offset:3200
	global_load_b64 v[122:123], v172, s[16:17] offset:2000
	;; [unrolled: 1-line block ×8, first 2 shown]
	v_add_co_u32 v120, s12, s16, v172
	v_mov_b32_e32 v3, v5
	v_add_co_u32 v0, vcc_lo, s10, v0
	v_add_co_ci_u32_e32 v1, vcc_lo, s11, v1, vcc_lo
	s_delay_alu instid0(VALU_DEP_3)
	v_lshlrev_b64_e32 v[2:3], 3, v[2:3]
	s_lshl_b64 s[10:11], s[4:5], 3
	s_wait_alu 0xf1ff
	v_add_co_ci_u32_e64 v121, null, s17, 0, s12
	v_add_nc_u32_e32 v40, 0x1c00, v172
	v_add_nc_u32_e32 v16, 0x2800, v172
	v_add_co_u32 v0, vcc_lo, v0, v2
	s_wait_alu 0xfffd
	v_add_co_ci_u32_e32 v1, vcc_lo, v1, v3, vcc_lo
	s_wait_alu 0xfffe
	s_delay_alu instid0(VALU_DEP_2) | instskip(SKIP_1) | instid1(VALU_DEP_2)
	v_add_co_u32 v2, vcc_lo, v0, s10
	s_wait_alu 0xfffd
	v_add_co_ci_u32_e32 v3, vcc_lo, s11, v1, vcc_lo
	global_load_b64 v[6:7], v[0:1], off
	v_add_co_u32 v4, vcc_lo, v2, s10
	s_wait_alu 0xfffd
	v_add_co_ci_u32_e32 v5, vcc_lo, s11, v3, vcc_lo
	s_delay_alu instid0(VALU_DEP_2) | instskip(SKIP_1) | instid1(VALU_DEP_2)
	v_add_co_u32 v0, vcc_lo, v4, s10
	s_wait_alu 0xfffd
	v_add_co_ci_u32_e32 v1, vcc_lo, s11, v5, vcc_lo
	s_clause 0x2
	global_load_b64 v[2:3], v[2:3], off
	global_load_b64 v[4:5], v[4:5], off
	;; [unrolled: 1-line block ×3, first 2 shown]
	v_add_co_u32 v8, vcc_lo, v0, s10
	s_wait_alu 0xfffd
	v_add_co_ci_u32_e32 v9, vcc_lo, s11, v1, vcc_lo
	s_delay_alu instid0(VALU_DEP_2) | instskip(SKIP_1) | instid1(VALU_DEP_2)
	v_add_co_u32 v0, vcc_lo, v8, s2
	s_wait_alu 0xfffd
	v_add_co_ci_u32_e32 v1, vcc_lo, s3, v9, vcc_lo
	global_load_b64 v[8:9], v[8:9], off
	v_add_co_u32 v12, vcc_lo, v0, s10
	s_wait_alu 0xfffd
	v_add_co_ci_u32_e32 v13, vcc_lo, s11, v1, vcc_lo
	global_load_b64 v[14:15], v[0:1], off
	;; [unrolled: 4-line block ×9, first 2 shown]
	v_add_nc_u32_e32 v12, 0x1000, v172
	v_add_co_u32 v0, vcc_lo, v29, s10
	s_wait_alu 0xfffd
	v_add_co_ci_u32_e32 v1, vcc_lo, s11, v30, vcc_lo
	global_load_b64 v[29:30], v[29:30], off
	global_load_b64 v[139:140], v172, s[16:17] offset:14800
	global_load_b64 v[33:34], v[0:1], off
	s_load_b64 s[8:9], s[0:1], 0x38
	s_load_b128 s[4:7], s[6:7], 0x0
	v_cmp_gt_u16_e32 vcc_lo, 25, v39
	s_wait_loadcnt 0xf
	v_mul_f32_e32 v35, v7, v146
	v_mul_f32_e32 v13, v6, v146
	s_delay_alu instid0(VALU_DEP_2) | instskip(NEXT) | instid1(VALU_DEP_2)
	v_fmac_f32_e32 v35, v6, v145
	v_fma_f32 v36, v7, v145, -v13
	s_wait_loadcnt 0xe
	v_mul_f32_e32 v6, v3, v148
	v_mul_f32_e32 v7, v2, v148
	s_wait_loadcnt 0xd
	s_delay_alu instid0(VALU_DEP_2) | instskip(SKIP_3) | instid1(VALU_DEP_2)
	v_dual_mul_f32 v37, v5, v150 :: v_dual_fmac_f32 v6, v2, v147
	s_wait_loadcnt 0xc
	v_dual_mul_f32 v2, v11, v152 :: v_dual_mul_f32 v13, v4, v150
	v_fma_f32 v7, v3, v147, -v7
	v_dual_fmac_f32 v37, v4, v149 :: v_dual_fmac_f32 v2, v10, v151
	s_wait_loadcnt 0xb
	v_mul_f32_e32 v4, v9, v144
	v_mul_f32_e32 v3, v10, v152
	v_fma_f32 v38, v5, v149, -v13
	s_delay_alu instid0(VALU_DEP_3) | instskip(SKIP_4) | instid1(VALU_DEP_3)
	v_fmac_f32_e32 v4, v8, v143
	s_wait_loadcnt 0xa
	v_dual_mul_f32 v10, v15, v134 :: v_dual_mul_f32 v5, v8, v144
	v_mul_f32_e32 v13, v14, v134
	v_fma_f32 v3, v11, v151, -v3
	v_fmac_f32_e32 v10, v14, v133
	s_delay_alu instid0(VALU_DEP_4)
	v_fma_f32 v5, v9, v143, -v5
	ds_store_b64 v172, v[6:7] offset:3200
	ds_store_b64 v172, v[37:38] offset:6400
	;; [unrolled: 1-line block ×4, first 2 shown]
	s_wait_loadcnt 0x8
	v_mul_f32_e32 v4, v20, v132
	v_fma_f32 v11, v15, v133, -v13
	v_mul_f32_e32 v2, v18, v136
	s_wait_loadcnt 0x7
	v_dual_mul_f32 v3, v17, v136 :: v_dual_mul_f32 v6, v22, v142
	ds_store_2addr_b64 v172, v[35:36], v[10:11] offset1:125
	v_mul_f32_e32 v7, v21, v142
	v_dual_mul_f32 v5, v19, v132 :: v_dual_fmac_f32 v2, v17, v135
	s_wait_loadcnt 0x6
	v_mul_f32_e32 v8, v24, v138
	v_mul_f32_e32 v14, v23, v138
	v_fmac_f32_e32 v4, v19, v131
	v_fma_f32 v5, v20, v131, -v5
	v_fma_f32 v3, v18, v135, -v3
	s_wait_loadcnt 0x5
	v_mul_f32_e32 v10, v26, v123
	v_dual_mul_f32 v9, v25, v123 :: v_dual_fmac_f32 v8, v23, v137
	v_fma_f32 v7, v22, v141, -v7
	s_wait_loadcnt 0x4
	s_delay_alu instid0(VALU_DEP_3) | instskip(NEXT) | instid1(VALU_DEP_3)
	v_dual_mul_f32 v15, v27, v125 :: v_dual_fmac_f32 v10, v25, v122
	v_fma_f32 v11, v26, v122, -v9
	v_mul_f32_e32 v13, v28, v125
	v_fmac_f32_e32 v6, v21, v141
	s_wait_loadcnt 0x3
	v_mul_f32_e32 v17, v32, v129
	v_fma_f32 v9, v24, v137, -v14
	ds_store_b64 v172, v[10:11] offset:2000
	v_fmac_f32_e32 v13, v27, v124
	v_mul_f32_e32 v11, v31, v129
	v_fma_f32 v14, v28, v124, -v15
	s_wait_loadcnt 0x2
	v_dual_fmac_f32 v17, v31, v128 :: v_dual_mul_f32 v10, v30, v127
	v_mul_f32_e32 v15, v29, v127
	s_wait_loadcnt 0x0
	v_mul_f32_e32 v19, v34, v140
	v_mul_f32_e32 v20, v33, v140
	v_fma_f32 v18, v32, v128, -v11
	v_fmac_f32_e32 v10, v29, v126
	v_fma_f32 v11, v30, v126, -v15
	v_fmac_f32_e32 v19, v33, v139
	v_fma_f32 v20, v34, v139, -v20
	v_add_nc_u32_e32 v15, 0x3400, v172
	ds_store_2addr_b64 v12, v[2:3], v[13:14] offset0:13 offset1:138
	ds_store_2addr_b64 v40, v[4:5], v[17:18] offset0:29 offset1:154
	;; [unrolled: 1-line block ×4, first 2 shown]
	s_and_saveexec_b32 s12, vcc_lo
	s_cbranch_execz .LBB0_3
; %bb.2:
	v_add_co_u32 v0, s2, v0, s2
	s_wait_alu 0xf1ff
	v_add_co_ci_u32_e64 v1, s2, s3, v1, s2
	s_delay_alu instid0(VALU_DEP_2) | instskip(SKIP_1) | instid1(VALU_DEP_2)
	v_add_co_u32 v2, s2, v0, s10
	s_wait_alu 0xf1ff
	v_add_co_ci_u32_e64 v3, s2, s11, v1, s2
	s_delay_alu instid0(VALU_DEP_2) | instskip(SKIP_1) | instid1(VALU_DEP_2)
	v_add_co_u32 v4, s2, v2, s10
	s_wait_alu 0xf1ff
	v_add_co_ci_u32_e64 v5, s2, s11, v3, s2
	global_load_b64 v[0:1], v[0:1], off
	global_load_b64 v[2:3], v[2:3], off
	s_clause 0x1
	global_load_b64 v[6:7], v[120:121], off offset:3000
	global_load_b64 v[8:9], v[120:121], off offset:6200
	global_load_b64 v[10:11], v[4:5], off
	v_add_co_u32 v4, s2, v4, s10
	s_wait_alu 0xf1ff
	v_add_co_ci_u32_e64 v5, s2, s11, v5, s2
	global_load_b64 v[13:14], v[120:121], off offset:9400
	v_add_co_u32 v17, s2, v4, s10
	s_wait_alu 0xf1ff
	v_add_co_ci_u32_e64 v18, s2, s11, v5, s2
	global_load_b64 v[4:5], v[4:5], off
	s_clause 0x1
	global_load_b64 v[19:20], v[120:121], off offset:12600
	global_load_b64 v[21:22], v[120:121], off offset:15800
	global_load_b64 v[17:18], v[17:18], off
	s_wait_loadcnt 0x7
	v_mul_f32_e32 v23, v1, v7
	v_mul_f32_e32 v15, v0, v7
	s_wait_loadcnt 0x6
	v_mul_f32_e32 v7, v3, v9
	v_mul_f32_e32 v9, v2, v9
	v_fmac_f32_e32 v23, v0, v6
	s_wait_loadcnt 0x4
	s_delay_alu instid0(VALU_DEP_3) | instskip(SKIP_2) | instid1(VALU_DEP_2)
	v_dual_mul_f32 v0, v11, v14 :: v_dual_fmac_f32 v7, v2, v8
	s_wait_loadcnt 0x2
	v_mul_f32_e32 v2, v5, v20
	v_fmac_f32_e32 v0, v10, v13
	v_fma_f32 v24, v1, v6, -v15
	s_delay_alu instid0(VALU_DEP_3)
	v_dual_mul_f32 v1, v10, v14 :: v_dual_fmac_f32 v2, v4, v19
	s_wait_loadcnt 0x0
	v_mul_f32_e32 v6, v17, v22
	v_fma_f32 v8, v3, v8, -v9
	v_mul_f32_e32 v3, v4, v20
	v_mul_f32_e32 v9, v18, v22
	v_fma_f32 v1, v11, v13, -v1
	v_fma_f32 v10, v18, v21, -v6
	s_delay_alu instid0(VALU_DEP_4) | instskip(NEXT) | instid1(VALU_DEP_4)
	v_fma_f32 v3, v5, v19, -v3
	v_fmac_f32_e32 v9, v17, v21
	ds_store_b64 v172, v[23:24] offset:3000
	ds_store_b64 v172, v[7:8] offset:6200
	;; [unrolled: 1-line block ×5, first 2 shown]
.LBB0_3:
	s_wait_alu 0xfffe
	s_or_b32 exec_lo, exec_lo, s12
	v_add_nc_u32_e32 v4, 0x600, v172
	v_add_nc_u32_e32 v8, 0x1800, v172
	;; [unrolled: 1-line block ×4, first 2 shown]
	global_wb scope:SCOPE_SE
	s_wait_dscnt 0x0
	s_wait_kmcnt 0x0
	s_barrier_signal -1
	s_barrier_wait -1
	global_inv scope:SCOPE_SE
	ds_load_2addr_b64 v[0:3], v172 offset1:125
	ds_load_2addr_b64 v[4:7], v4 offset0:58 offset1:208
	ds_load_2addr_b64 v[20:23], v8 offset0:32 offset1:157
	;; [unrolled: 1-line block ×6, first 2 shown]
	ds_load_b64 v[36:37], v172 offset:14800
                                        ; implicit-def: $vgpr60
                                        ; implicit-def: $vgpr28
                                        ; implicit-def: $vgpr30
                                        ; implicit-def: $vgpr32
                                        ; implicit-def: $vgpr34
	s_and_saveexec_b32 s2, vcc_lo
	s_cbranch_execz .LBB0_5
; %bb.4:
	ds_load_b64 v[60:61], v172 offset:3000
	ds_load_b64 v[28:29], v172 offset:6200
	;; [unrolled: 1-line block ×5, first 2 shown]
.LBB0_5:
	s_wait_alu 0xfffe
	s_or_b32 exec_lo, exec_lo, s2
	s_wait_dscnt 0x3
	v_dual_add_f32 v38, v20, v10 :: v_dual_sub_f32 v41, v7, v25
	v_add_co_u32 v106, s2, 0x7d, v173
	s_wait_alu 0xf1ff
	v_add_co_ci_u32_e64 v40, null, 0, 0, s2
	s_delay_alu instid0(VALU_DEP_3) | instskip(SKIP_3) | instid1(VALU_DEP_3)
	v_fma_f32 v38, -0.5, v38, v0
	v_add_f32_e32 v39, v0, v6
	v_dual_sub_f32 v43, v21, v11 :: v_dual_sub_f32 v42, v6, v20
	v_sub_f32_e32 v44, v24, v10
	v_dual_fmamk_f32 v40, v41, 0x3f737871, v38 :: v_dual_add_f32 v39, v39, v20
	v_add_co_u32 v104, s2, 0xfa, v173
	s_wait_alu 0xf1ff
	v_add_co_ci_u32_e64 v46, null, 0, 0, s2
	s_delay_alu instid0(VALU_DEP_3) | instskip(SKIP_2) | instid1(VALU_DEP_3)
	v_dual_add_f32 v45, v6, v24 :: v_dual_fmac_f32 v40, 0x3f167918, v43
	v_dual_add_f32 v39, v39, v10 :: v_dual_add_f32 v46, v42, v44
	v_fmac_f32_e32 v38, 0xbf737871, v41
	v_fma_f32 v0, -0.5, v45, v0
	v_sub_f32_e32 v45, v10, v24
	s_delay_alu instid0(VALU_DEP_4) | instskip(SKIP_2) | instid1(VALU_DEP_3)
	v_dual_add_f32 v42, v39, v24 :: v_dual_sub_f32 v39, v20, v6
	v_dual_fmac_f32 v40, 0x3e9e377a, v46 :: v_dual_add_f32 v47, v1, v7
	v_add_f32_e32 v48, v21, v11
	v_dual_fmac_f32 v38, 0xbf167918, v43 :: v_dual_add_f32 v45, v39, v45
	v_sub_f32_e32 v10, v20, v10
	v_sub_f32_e32 v24, v6, v24
	s_delay_alu instid0(VALU_DEP_4) | instskip(SKIP_4) | instid1(VALU_DEP_3)
	v_fma_f32 v39, -0.5, v48, v1
	v_fmamk_f32 v44, v43, 0xbf737871, v0
	v_dual_fmac_f32 v0, 0x3f737871, v43 :: v_dual_add_f32 v43, v47, v21
	s_load_b64 s[0:1], s[0:1], 0x8
	v_add_co_u32 v105, null, 0x177, v173
	v_fmac_f32_e32 v44, 0x3f167918, v41
	s_delay_alu instid0(VALU_DEP_3)
	v_add_f32_e32 v6, v43, v11
	v_add_f32_e32 v43, v7, v25
	v_fmac_f32_e32 v0, 0xbf167918, v41
	v_fmamk_f32 v41, v24, 0xbf737871, v39
	v_mul_u32_u24_e32 v181, 5, v105
	global_wb scope:SCOPE_SE
	s_wait_dscnt 0x0
	v_fma_f32 v1, -0.5, v43, v1
	v_dual_sub_f32 v20, v7, v21 :: v_dual_fmac_f32 v41, 0xbf167918, v10
	v_fmac_f32_e32 v39, 0x3f737871, v24
	v_dual_fmac_f32 v38, 0x3e9e377a, v46 :: v_dual_add_f32 v43, v6, v25
	v_dual_sub_f32 v6, v21, v7 :: v_dual_sub_f32 v7, v11, v25
	s_delay_alu instid0(VALU_DEP_3) | instskip(SKIP_3) | instid1(VALU_DEP_4)
	v_dual_sub_f32 v46, v25, v11 :: v_dual_fmac_f32 v39, 0x3f167918, v10
	v_add_f32_e32 v11, v22, v16
	v_add_f32_e32 v21, v2, v12
	v_sub_f32_e32 v25, v12, v22
	v_add_f32_e32 v20, v20, v46
	v_fmac_f32_e32 v44, 0x3e9e377a, v45
	v_sub_f32_e32 v46, v26, v16
	s_wait_kmcnt 0x0
	s_barrier_signal -1
	s_barrier_wait -1
	v_fmac_f32_e32 v41, 0x3e9e377a, v20
	v_dual_fmac_f32 v39, 0x3e9e377a, v20 :: v_dual_fmac_f32 v0, 0x3e9e377a, v45
	v_add_f32_e32 v7, v6, v7
	v_dual_fmamk_f32 v45, v10, 0x3f737871, v1 :: v_dual_add_f32 v20, v21, v22
	v_fma_f32 v6, -0.5, v11, v2
	v_sub_f32_e32 v11, v13, v27
	v_fmac_f32_e32 v1, 0xbf737871, v10
	s_delay_alu instid0(VALU_DEP_4) | instskip(SKIP_1) | instid1(VALU_DEP_4)
	v_fmac_f32_e32 v45, 0xbf167918, v24
	v_dual_add_f32 v20, v20, v16 :: v_dual_sub_f32 v21, v23, v17
	v_fmamk_f32 v10, v11, 0x3f737871, v6
	s_delay_alu instid0(VALU_DEP_4) | instskip(NEXT) | instid1(VALU_DEP_3)
	v_fmac_f32_e32 v1, 0x3f167918, v24
	v_dual_fmac_f32 v45, 0x3e9e377a, v7 :: v_dual_add_f32 v20, v20, v26
	s_delay_alu instid0(VALU_DEP_3) | instskip(SKIP_2) | instid1(VALU_DEP_3)
	v_dual_add_f32 v47, v12, v26 :: v_dual_fmac_f32 v10, 0x3f167918, v21
	v_dual_add_f32 v25, v25, v46 :: v_dual_fmac_f32 v6, 0xbf737871, v11
	v_sub_f32_e32 v46, v16, v26
	v_fma_f32 v2, -0.5, v47, v2
	s_delay_alu instid0(VALU_DEP_3) | instskip(SKIP_1) | instid1(VALU_DEP_3)
	v_dual_fmac_f32 v1, 0x3e9e377a, v7 :: v_dual_fmac_f32 v10, 0x3e9e377a, v25
	v_dual_sub_f32 v7, v22, v12 :: v_dual_sub_f32 v26, v12, v26
	v_dual_fmamk_f32 v24, v21, 0xbf737871, v2 :: v_dual_add_f32 v47, v3, v13
	v_fmac_f32_e32 v2, 0x3f737871, v21
	s_delay_alu instid0(VALU_DEP_3) | instskip(SKIP_1) | instid1(VALU_DEP_4)
	v_add_f32_e32 v46, v7, v46
	v_sub_f32_e32 v16, v22, v16
	v_fmac_f32_e32 v24, 0x3f167918, v11
	v_dual_fmac_f32 v6, 0xbf167918, v21 :: v_dual_add_f32 v21, v47, v23
	global_inv scope:SCOPE_SE
	v_fmac_f32_e32 v6, 0x3e9e377a, v25
	v_sub_f32_e32 v25, v27, v17
	v_add_f32_e32 v48, v23, v17
	s_delay_alu instid0(VALU_DEP_1) | instskip(SKIP_2) | instid1(VALU_DEP_1)
	v_fma_f32 v7, -0.5, v48, v3
	v_add_f32_e32 v12, v21, v17
	v_dual_add_f32 v21, v13, v27 :: v_dual_fmac_f32 v24, 0x3e9e377a, v46
	v_dual_add_f32 v48, v9, v19 :: v_dual_fmac_f32 v3, -0.5, v21
	v_sub_f32_e32 v22, v13, v23
	s_delay_alu instid0(VALU_DEP_4) | instskip(SKIP_2) | instid1(VALU_DEP_4)
	v_add_f32_e32 v21, v12, v27
	v_fmac_f32_e32 v2, 0xbf167918, v11
	v_fmamk_f32 v11, v26, 0xbf737871, v7
	v_dual_fmac_f32 v7, 0x3f737871, v26 :: v_dual_add_f32 v22, v22, v25
	v_dual_sub_f32 v12, v23, v13 :: v_dual_sub_f32 v13, v17, v27
	s_delay_alu instid0(VALU_DEP_3) | instskip(SKIP_1) | instid1(VALU_DEP_2)
	v_fmac_f32_e32 v11, 0xbf167918, v16
	v_add_f32_e32 v17, v8, v18
	v_fmac_f32_e32 v11, 0x3e9e377a, v22
	v_fmac_f32_e32 v7, 0x3f167918, v16
	v_dual_fmac_f32 v2, 0x3e9e377a, v46 :: v_dual_add_f32 v13, v12, v13
	v_fmamk_f32 v25, v16, 0x3f737871, v3
	v_fma_f32 v12, -0.5, v17, v4
	v_dual_sub_f32 v17, v15, v37 :: v_dual_sub_f32 v46, v36, v18
	v_add_f32_e32 v23, v4, v14
	v_fmac_f32_e32 v7, 0x3e9e377a, v22
	v_fmac_f32_e32 v3, 0xbf737871, v16
	s_delay_alu instid0(VALU_DEP_4)
	v_fmamk_f32 v16, v17, 0x3f737871, v12
	v_fmac_f32_e32 v12, 0xbf737871, v17
	v_dual_fmac_f32 v25, 0xbf167918, v26 :: v_dual_add_f32 v22, v23, v8
	v_sub_f32_e32 v23, v9, v19
	v_sub_f32_e32 v27, v14, v8
	v_fmac_f32_e32 v3, 0x3f167918, v26
	s_delay_alu instid0(VALU_DEP_4) | instskip(NEXT) | instid1(VALU_DEP_3)
	v_dual_fmac_f32 v25, 0x3e9e377a, v13 :: v_dual_add_f32 v22, v22, v18
	v_dual_add_f32 v27, v27, v46 :: v_dual_sub_f32 v46, v18, v36
	v_fmac_f32_e32 v12, 0xbf167918, v23
	v_dual_fmac_f32 v16, 0x3f167918, v23 :: v_dual_add_f32 v47, v14, v36
	v_fmac_f32_e32 v3, 0x3e9e377a, v13
	s_delay_alu instid0(VALU_DEP_3) | instskip(NEXT) | instid1(VALU_DEP_3)
	v_dual_sub_f32 v13, v8, v14 :: v_dual_fmac_f32 v12, 0x3e9e377a, v27
	v_dual_fmac_f32 v16, 0x3e9e377a, v27 :: v_dual_add_f32 v27, v15, v37
	s_delay_alu instid0(VALU_DEP_4) | instskip(NEXT) | instid1(VALU_DEP_3)
	v_fma_f32 v4, -0.5, v47, v4
	v_add_f32_e32 v46, v13, v46
	v_fma_f32 v13, -0.5, v48, v5
	v_add_f32_e32 v22, v22, v36
	s_delay_alu instid0(VALU_DEP_4) | instskip(NEXT) | instid1(VALU_DEP_1)
	v_dual_fmamk_f32 v26, v23, 0xbf737871, v4 :: v_dual_add_f32 v47, v5, v15
	v_dual_fmac_f32 v5, -0.5, v27 :: v_dual_fmac_f32 v26, 0x3f167918, v17
	s_delay_alu instid0(VALU_DEP_2) | instskip(SKIP_1) | instid1(VALU_DEP_2)
	v_dual_fmac_f32 v4, 0x3f737871, v23 :: v_dual_add_f32 v23, v47, v9
	v_sub_f32_e32 v14, v14, v36
	v_dual_fmac_f32 v26, 0x3e9e377a, v46 :: v_dual_add_f32 v23, v23, v19
	v_sub_f32_e32 v8, v8, v18
	v_sub_f32_e32 v18, v15, v9
	;; [unrolled: 1-line block ×4, first 2 shown]
	v_add_f32_e32 v23, v23, v37
	v_fmac_f32_e32 v4, 0xbf167918, v17
	v_fmamk_f32 v17, v14, 0xbf737871, v13
	v_fmac_f32_e32 v13, 0x3f737871, v14
	v_dual_sub_f32 v15, v19, v37 :: v_dual_add_f32 v18, v18, v36
	v_fmamk_f32 v27, v8, 0x3f737871, v5
	s_delay_alu instid0(VALU_DEP_4)
	v_fmac_f32_e32 v17, 0xbf167918, v8
	v_fmac_f32_e32 v4, 0x3e9e377a, v46
	;; [unrolled: 1-line block ×4, first 2 shown]
	v_dual_add_f32 v8, v60, v28 :: v_dual_add_f32 v9, v9, v15
	v_dual_sub_f32 v15, v29, v35 :: v_dual_add_f32 v36, v28, v34
	v_add_f32_e32 v19, v30, v32
	v_fmac_f32_e32 v17, 0x3e9e377a, v18
	s_delay_alu instid0(VALU_DEP_4) | instskip(SKIP_1) | instid1(VALU_DEP_4)
	v_add_f32_e32 v8, v8, v30
	v_fmac_f32_e32 v27, 0xbf167918, v14
	v_fma_f32 v62, -0.5, v19, v60
	v_fmac_f32_e32 v60, -0.5, v36
	s_delay_alu instid0(VALU_DEP_4) | instskip(NEXT) | instid1(VALU_DEP_3)
	v_add_f32_e32 v8, v8, v32
	v_fmamk_f32 v64, v15, 0x3f737871, v62
	v_fmac_f32_e32 v62, 0xbf737871, v15
	v_dual_fmac_f32 v5, 0x3f167918, v14 :: v_dual_sub_f32 v14, v31, v33
	s_delay_alu instid0(VALU_DEP_4) | instskip(SKIP_1) | instid1(VALU_DEP_3)
	v_dual_sub_f32 v19, v34, v32 :: v_dual_add_f32 v92, v8, v34
	v_add_f32_e32 v8, v61, v29
	v_fmac_f32_e32 v64, 0x3f167918, v14
	v_fmac_f32_e32 v13, 0x3e9e377a, v18
	v_dual_sub_f32 v18, v28, v30 :: v_dual_fmac_f32 v27, 0x3e9e377a, v9
	v_fmac_f32_e32 v62, 0xbf167918, v14
	v_fmamk_f32 v66, v14, 0xbf737871, v60
	s_delay_alu instid0(VALU_DEP_3) | instskip(SKIP_1) | instid1(VALU_DEP_3)
	v_dual_add_f32 v18, v18, v19 :: v_dual_sub_f32 v19, v32, v34
	v_fmac_f32_e32 v5, 0x3e9e377a, v9
	v_dual_add_f32 v9, v31, v33 :: v_dual_fmac_f32 v66, 0x3f167918, v15
	s_delay_alu instid0(VALU_DEP_3) | instskip(SKIP_2) | instid1(VALU_DEP_4)
	v_fmac_f32_e32 v64, 0x3e9e377a, v18
	v_fmac_f32_e32 v62, 0x3e9e377a, v18
	v_sub_f32_e32 v18, v30, v28
	v_fma_f32 v63, -0.5, v9, v61
	v_sub_f32_e32 v9, v28, v34
	s_delay_alu instid0(VALU_DEP_1) | instskip(SKIP_1) | instid1(VALU_DEP_2)
	v_dual_fmamk_f32 v65, v9, 0xbf737871, v63 :: v_dual_add_f32 v8, v8, v31
	v_fmac_f32_e32 v63, 0x3f737871, v9
	v_add_f32_e32 v8, v8, v33
	v_fmac_f32_e32 v60, 0x3f737871, v14
	v_add_f32_e32 v14, v18, v19
	v_dual_sub_f32 v18, v30, v32 :: v_dual_sub_f32 v19, v33, v35
	s_delay_alu instid0(VALU_DEP_4) | instskip(NEXT) | instid1(VALU_DEP_4)
	v_add_f32_e32 v93, v8, v35
	v_fmac_f32_e32 v60, 0xbf167918, v15
	v_add_f32_e32 v15, v29, v35
	s_delay_alu instid0(VALU_DEP_4) | instskip(NEXT) | instid1(VALU_DEP_2)
	v_fmac_f32_e32 v65, 0xbf167918, v18
	v_fmac_f32_e32 v61, -0.5, v15
	v_dual_sub_f32 v8, v29, v31 :: v_dual_sub_f32 v15, v31, v29
	v_fmac_f32_e32 v66, 0x3e9e377a, v14
	v_fmac_f32_e32 v63, 0x3f167918, v18
	s_delay_alu instid0(VALU_DEP_4) | instskip(SKIP_1) | instid1(VALU_DEP_2)
	v_fmamk_f32 v67, v18, 0x3f737871, v61
	v_fmac_f32_e32 v61, 0xbf737871, v18
	v_fmac_f32_e32 v67, 0xbf167918, v9
	;; [unrolled: 1-line block ×3, first 2 shown]
	v_sub_f32_e32 v14, v35, v33
	s_delay_alu instid0(VALU_DEP_4) | instskip(SKIP_1) | instid1(VALU_DEP_3)
	v_fmac_f32_e32 v61, 0x3f167918, v9
	v_mul_u32_u24_e32 v9, 5, v106
	v_add_f32_e32 v8, v8, v14
	v_add_f32_e32 v14, v15, v19
	v_mul_lo_u16 v15, v173, 5
	s_delay_alu instid0(VALU_DEP_4) | instskip(NEXT) | instid1(VALU_DEP_4)
	v_lshlrev_b32_e32 v179, 3, v9
	v_fmac_f32_e32 v65, 0x3e9e377a, v8
	v_fmac_f32_e32 v63, 0x3e9e377a, v8
	s_delay_alu instid0(VALU_DEP_4) | instskip(NEXT) | instid1(VALU_DEP_1)
	v_and_b32_e32 v8, 0xffff, v15
	v_dual_fmac_f32 v67, 0x3e9e377a, v14 :: v_dual_lshlrev_b32 v180, 3, v8
	v_mul_u32_u24_e32 v8, 5, v104
	v_fmac_f32_e32 v61, 0x3e9e377a, v14
	ds_store_2addr_b64 v180, v[42:43], v[40:41] offset1:1
	ds_store_2addr_b64 v180, v[44:45], v[0:1] offset0:2 offset1:3
	ds_store_b64 v180, v[38:39] offset:32
	v_lshlrev_b32_e32 v178, 3, v8
	ds_store_2addr_b64 v179, v[20:21], v[10:11] offset1:1
	ds_store_2addr_b64 v179, v[24:25], v[2:3] offset0:2 offset1:3
	ds_store_b64 v179, v[6:7] offset:32
	ds_store_2addr_b64 v178, v[22:23], v[16:17] offset1:1
	ds_store_2addr_b64 v178, v[26:27], v[4:5] offset0:2 offset1:3
	ds_store_b64 v178, v[12:13] offset:32
	s_and_saveexec_b32 s2, vcc_lo
	s_cbranch_execz .LBB0_7
; %bb.6:
	v_lshlrev_b32_e32 v0, 3, v181
	ds_store_2addr_b64 v0, v[92:93], v[64:65] offset1:1
	ds_store_2addr_b64 v0, v[66:67], v[60:61] offset0:2 offset1:3
	ds_store_b64 v0, v[62:63] offset:32
.LBB0_7:
	s_wait_alu 0xfffe
	s_or_b32 exec_lo, exec_lo, s2
	v_add_nc_u32_e32 v8, 0x1800, v172
	v_add_nc_u32_e32 v0, 0x600, v172
	;; [unrolled: 1-line block ×6, first 2 shown]
	global_wb scope:SCOPE_SE
	s_wait_dscnt 0x0
	s_barrier_signal -1
	s_barrier_wait -1
	global_inv scope:SCOPE_SE
	ds_load_2addr_b64 v[4:7], v172 offset1:125
	ds_load_2addr_b64 v[0:3], v0 offset0:58 offset1:208
	ds_load_2addr_b64 v[56:59], v8 offset0:32 offset1:157
	;; [unrolled: 1-line block ×6, first 2 shown]
	ds_load_b64 v[68:69], v172 offset:14800
	s_and_saveexec_b32 s2, vcc_lo
	s_cbranch_execz .LBB0_9
; %bb.8:
	ds_load_b64 v[92:93], v172 offset:3000
	ds_load_b64 v[64:65], v172 offset:6200
	;; [unrolled: 1-line block ×5, first 2 shown]
.LBB0_9:
	s_wait_alu 0xfffe
	s_or_b32 exec_lo, exec_lo, s2
	v_and_b32_e32 v109, 0xff, v173
	v_and_b32_e32 v110, 0xff, v106
	s_delay_alu instid0(VALU_DEP_2) | instskip(NEXT) | instid1(VALU_DEP_1)
	v_mul_lo_u16 v8, 0xcd, v109
	v_lshrrev_b16 v70, 10, v8
	s_delay_alu instid0(VALU_DEP_3) | instskip(NEXT) | instid1(VALU_DEP_2)
	v_mul_lo_u16 v8, 0xcd, v110
	v_mul_lo_u16 v9, v70, 5
	s_delay_alu instid0(VALU_DEP_2) | instskip(NEXT) | instid1(VALU_DEP_2)
	v_lshrrev_b16 v71, 10, v8
	v_sub_nc_u16 v8, v173, v9
	s_delay_alu instid0(VALU_DEP_2) | instskip(NEXT) | instid1(VALU_DEP_2)
	v_mul_lo_u16 v9, v71, 5
	v_and_b32_e32 v72, 0xff, v8
	s_delay_alu instid0(VALU_DEP_2) | instskip(NEXT) | instid1(VALU_DEP_2)
	v_sub_nc_u16 v8, v106, v9
	v_lshlrev_b32_e32 v9, 5, v72
	s_clause 0x1
	global_load_b128 v[36:39], v9, s[0:1]
	global_load_b128 v[32:35], v9, s[0:1] offset:16
	v_and_b32_e32 v73, 0xff, v8
	v_and_b32_e32 v107, 0xffff, v105
	;; [unrolled: 1-line block ×3, first 2 shown]
	s_delay_alu instid0(VALU_DEP_3) | instskip(NEXT) | instid1(VALU_DEP_3)
	v_lshlrev_b32_e32 v8, 5, v73
	v_mul_u32_u24_e32 v9, 0xcccd, v107
	s_clause 0x1
	global_load_b128 v[28:31], v8, s[0:1]
	global_load_b128 v[24:27], v8, s[0:1] offset:16
	v_lshrrev_b32_e32 v75, 18, v9
	v_and_b32_e32 v70, 0xffff, v70
	v_and_b32_e32 v71, 0xffff, v71
	s_delay_alu instid0(VALU_DEP_3) | instskip(NEXT) | instid1(VALU_DEP_1)
	v_mul_lo_u16 v8, v75, 5
	v_sub_nc_u16 v77, v105, v8
	s_delay_alu instid0(VALU_DEP_1) | instskip(SKIP_3) | instid1(VALU_DEP_1)
	v_mad_u16 v174, v75, 25, v77
	s_wait_loadcnt_dscnt 0x204
	v_mul_f32_e32 v75, v42, v33
	v_mul_u32_u24_e32 v10, 0xcccd, v108
	v_lshrrev_b32_e32 v74, 18, v10
	s_wait_loadcnt_dscnt 0x102
	v_mul_f32_e32 v78, v49, v29
	s_delay_alu instid0(VALU_DEP_2)
	v_mul_lo_u16 v10, v74, 5
	v_mul_u32_u24_e32 v71, 25, v71
	s_wait_loadcnt_dscnt 0x1
	v_mul_f32_e32 v83, v44, v25
	v_mul_u32_u24_e32 v70, 25, v70
	v_mul_f32_e32 v81, v58, v31
	v_sub_nc_u16 v76, v104, v10
	v_mul_f32_e32 v85, v54, v27
	v_dual_mul_f32 v80, v59, v31 :: v_dual_mul_f32 v79, v48, v29
	v_mul_f32_e32 v82, v45, v25
	s_delay_alu instid0(VALU_DEP_4) | instskip(SKIP_3) | instid1(VALU_DEP_4)
	v_lshlrev_b16 v9, 2, v76
	v_mad_u16 v74, v74, 25, v76
	v_mul_f32_e32 v76, v53, v35
	v_mul_f32_e32 v84, v55, v27
	v_and_b32_e32 v8, 0xffff, v9
	v_lshlrev_b16 v9, 2, v77
	v_dual_mul_f32 v77, v52, v35 :: v_dual_and_b32 v74, 0xffff, v74
	v_fma_f32 v52, v52, v34, -v76
	s_delay_alu instid0(VALU_DEP_4) | instskip(NEXT) | instid1(VALU_DEP_4)
	v_lshlrev_b32_e32 v8, 3, v8
	v_and_b32_e32 v9, 0xffff, v9
	s_delay_alu instid0(VALU_DEP_4)
	v_dual_mul_f32 v74, v43, v33 :: v_dual_lshlrev_b32 v175, 3, v74
	v_add_lshl_u32 v176, v71, v73, 3
	global_load_b128 v[20:23], v8, s[0:1]
	v_lshlrev_b32_e32 v9, 3, v9
	s_clause 0x2
	global_load_b128 v[16:19], v8, s[0:1] offset:16
	global_load_b128 v[12:15], v9, s[0:1]
	global_load_b128 v[8:11], v9, s[0:1] offset:16
	v_mul_f32_e32 v71, v2, v37
	v_mul_f32_e32 v73, v56, v39
	v_add_lshl_u32 v177, v70, v72, 3
	v_mul_f32_e32 v70, v3, v37
	s_delay_alu instid0(VALU_DEP_4) | instskip(NEXT) | instid1(VALU_DEP_4)
	v_dual_mul_f32 v72, v57, v39 :: v_dual_fmac_f32 v71, v3, v36
	v_fmac_f32_e32 v73, v57, v38
	v_fma_f32 v42, v42, v32, -v74
	s_delay_alu instid0(VALU_DEP_4) | instskip(NEXT) | instid1(VALU_DEP_4)
	v_fma_f32 v2, v2, v36, -v70
	v_fma_f32 v3, v56, v38, -v72
	v_fmac_f32_e32 v75, v43, v32
	v_fmac_f32_e32 v77, v53, v34
	v_fma_f32 v43, v48, v28, -v78
	v_fmac_f32_e32 v79, v49, v28
	v_fma_f32 v48, v58, v30, -v80
	;; [unrolled: 2-line block ×4, first 2 shown]
	v_fmac_f32_e32 v85, v55, v26
	v_add_f32_e32 v87, v6, v43
	v_dual_sub_f32 v91, v43, v48 :: v_dual_sub_f32 v96, v48, v43
	s_delay_alu instid0(VALU_DEP_4)
	v_dual_sub_f32 v100, v43, v54 :: v_dual_sub_f32 v101, v48, v49
	global_wb scope:SCOPE_SE
	s_wait_loadcnt_dscnt 0x0
	s_barrier_signal -1
	s_barrier_wait -1
	global_inv scope:SCOPE_SE
	v_add_f32_e32 v88, v48, v49
	v_add_f32_e32 v48, v87, v48
	v_sub_f32_e32 v94, v54, v49
	s_delay_alu instid0(VALU_DEP_2)
	v_add_f32_e32 v164, v48, v49
	v_mul_f32_e32 v44, v51, v21
	v_mul_f32_e32 v45, v50, v21
	v_dual_mul_f32 v53, v41, v23 :: v_dual_mul_f32 v56, v47, v17
	v_mul_f32_e32 v58, v69, v19
	v_mul_f32_e32 v80, v60, v9
	;; [unrolled: 1-line block ×4, first 2 shown]
	v_dual_mul_f32 v59, v65, v13 :: v_dual_mul_f32 v84, v62, v11
	v_mul_f32_e32 v72, v64, v13
	v_dual_mul_f32 v57, v46, v17 :: v_dual_mul_f32 v74, v67, v15
	v_mul_f32_e32 v76, v66, v15
	v_mul_f32_e32 v78, v61, v9
	s_delay_alu instid0(VALU_DEP_4)
	v_fmac_f32_e32 v72, v65, v12
	v_mul_f32_e32 v82, v63, v11
	v_fma_f32 v44, v50, v20, -v44
	v_fmac_f32_e32 v45, v51, v20
	v_fma_f32 v50, v40, v22, -v53
	v_add_f32_e32 v40, v4, v2
	v_fma_f32 v56, v46, v16, -v56
	v_fmac_f32_e32 v57, v47, v16
	v_fma_f32 v68, v68, v18, -v58
	v_fmac_f32_e32 v70, v69, v18
	v_dual_fmac_f32 v55, v41, v22 :: v_dual_sub_f32 v58, v71, v77
	v_fma_f32 v46, v64, v12, -v59
	v_fma_f32 v53, v66, v14, -v74
	v_dual_fmac_f32 v76, v67, v14 :: v_dual_sub_f32 v59, v73, v75
	v_fma_f32 v60, v60, v8, -v78
	v_dual_fmac_f32 v80, v61, v8 :: v_dual_add_f32 v41, v3, v42
	v_fma_f32 v62, v62, v10, -v82
	v_dual_fmac_f32 v84, v63, v10 :: v_dual_sub_f32 v47, v2, v3
	v_dual_sub_f32 v51, v52, v42 :: v_dual_sub_f32 v64, v42, v52
	v_dual_add_f32 v61, v2, v52 :: v_dual_sub_f32 v74, v71, v73
	v_dual_sub_f32 v63, v3, v2 :: v_dual_sub_f32 v78, v77, v75
	v_dual_add_f32 v65, v5, v71 :: v_dual_add_f32 v82, v71, v77
	v_dual_add_f32 v66, v73, v75 :: v_dual_sub_f32 v67, v2, v52
	v_sub_f32_e32 v86, v75, v77
	v_sub_f32_e32 v69, v3, v42
	;; [unrolled: 1-line block ×3, first 2 shown]
	v_dual_sub_f32 v89, v79, v85 :: v_dual_sub_f32 v90, v81, v83
	v_dual_add_f32 v95, v43, v54 :: v_dual_sub_f32 v102, v85, v83
	v_dual_sub_f32 v97, v49, v54 :: v_dual_add_f32 v98, v7, v79
	v_add_f32_e32 v99, v81, v83
	v_dual_sub_f32 v43, v79, v81 :: v_dual_add_f32 v112, v40, v3
	v_add_f32_e32 v103, v79, v85
	v_sub_f32_e32 v79, v81, v79
	v_sub_f32_e32 v111, v83, v85
	v_fma_f32 v2, -0.5, v41, v4
	v_add_f32_e32 v113, v47, v51
	v_fma_f32 v4, -0.5, v61, v4
	v_add_f32_e32 v61, v63, v64
	v_add_f32_e32 v47, v65, v73
	v_fma_f32 v3, -0.5, v66, v5
	v_add_f32_e32 v63, v74, v78
	v_fma_f32 v5, -0.5, v82, v5
	;; [unrolled: 2-line block ×3, first 2 shown]
	v_dual_add_f32 v65, v91, v94 :: v_dual_sub_f32 v88, v50, v44
	v_fma_f32 v6, -0.5, v95, v6
	v_add_f32_e32 v66, v96, v97
	v_dual_add_f32 v51, v98, v81 :: v_dual_sub_f32 v96, v45, v55
	v_fma_f32 v41, -0.5, v99, v7
	v_dual_add_f32 v74, v0, v44 :: v_dual_fmac_f32 v7, -0.5, v103
	v_add_f32_e32 v98, v45, v70
	v_dual_add_f32 v78, v50, v56 :: v_dual_add_f32 v73, v79, v111
	v_add_f32_e32 v114, v92, v46
	v_sub_f32_e32 v82, v44, v50
	v_sub_f32_e32 v86, v68, v56
	v_dual_add_f32 v87, v44, v68 :: v_dual_sub_f32 v158, v46, v62
	v_dual_sub_f32 v91, v56, v68 :: v_dual_add_f32 v94, v1, v45
	v_dual_add_f32 v95, v55, v57 :: v_dual_add_f32 v156, v93, v72
	v_dual_sub_f32 v97, v70, v57 :: v_dual_sub_f32 v160, v72, v76
	v_dual_sub_f32 v99, v55, v45 :: v_dual_add_f32 v162, v72, v84
	v_add_f32_e32 v115, v53, v60
	v_add_f32_e32 v153, v46, v62
	;; [unrolled: 1-line block ×3, first 2 shown]
	v_dual_add_f32 v71, v43, v102 :: v_dual_sub_f32 v116, v72, v84
	v_dual_sub_f32 v79, v45, v70 :: v_dual_sub_f32 v118, v46, v53
	v_dual_sub_f32 v81, v55, v57 :: v_dual_sub_f32 v154, v53, v46
	v_sub_f32_e32 v102, v44, v68
	v_dual_sub_f32 v103, v50, v56 :: v_dual_add_f32 v112, v112, v42
	v_dual_sub_f32 v111, v57, v70 :: v_dual_sub_f32 v72, v76, v72
	v_dual_sub_f32 v117, v76, v80 :: v_dual_fmamk_f32 v44, v59, 0xbf737871, v4
	v_dual_sub_f32 v119, v62, v60 :: v_dual_fmac_f32 v4, 0x3f737871, v59
	v_dual_sub_f32 v155, v60, v62 :: v_dual_fmamk_f32 v46, v89, 0x3f737871, v40
	v_dual_sub_f32 v159, v53, v60 :: v_dual_fmamk_f32 v48, v90, 0xbf737871, v6
	v_dual_sub_f32 v163, v80, v84 :: v_dual_add_f32 v74, v74, v50
	v_fmamk_f32 v42, v58, 0x3f737871, v2
	v_dual_fmac_f32 v2, 0xbf737871, v58 :: v_dual_add_f32 v75, v47, v75
	v_fmamk_f32 v43, v67, 0xbf737871, v3
	v_fmac_f32_e32 v3, 0x3f737871, v67
	v_fmamk_f32 v45, v69, 0x3f737871, v5
	v_fmac_f32_e32 v5, 0xbf737871, v69
	v_dual_fmac_f32 v40, 0xbf737871, v89 :: v_dual_add_f32 v83, v51, v83
	v_add_f32_e32 v76, v156, v76
	v_fmamk_f32 v47, v100, 0xbf737871, v41
	v_dual_fmac_f32 v41, 0x3f737871, v100 :: v_dual_add_f32 v72, v72, v163
	v_dual_fmamk_f32 v49, v101, 0x3f737871, v7 :: v_dual_add_f32 v52, v112, v52
	v_dual_fmac_f32 v7, 0xbf737871, v101 :: v_dual_add_f32 v54, v164, v54
	v_fma_f32 v50, -0.5, v78, v0
	v_add_f32_e32 v78, v82, v86
	v_fma_f32 v0, -0.5, v87, v0
	v_add_f32_e32 v82, v88, v91
	v_add_f32_e32 v86, v94, v55
	v_fma_f32 v51, -0.5, v95, v1
	v_dual_add_f32 v87, v96, v97 :: v_dual_fmac_f32 v42, 0x3f167918, v59
	v_dual_fmac_f32 v1, -0.5, v98 :: v_dual_fmac_f32 v2, 0xbf167918, v59
	v_dual_add_f32 v91, v114, v53 :: v_dual_fmac_f32 v44, 0x3f167918, v58
	v_fma_f32 v96, -0.5, v115, v92
	v_fmac_f32_e32 v92, -0.5, v153
	v_fma_f32 v97, -0.5, v157, v93
	v_dual_fmac_f32 v93, -0.5, v162 :: v_dual_fmac_f32 v48, 0x3f167918, v89
	v_dual_sub_f32 v161, v84, v80 :: v_dual_fmac_f32 v6, 0x3f737871, v90
	v_add_f32_e32 v88, v99, v111
	v_dual_add_f32 v111, v118, v119 :: v_dual_fmac_f32 v4, 0xbf167918, v58
	v_dual_add_f32 v114, v154, v155 :: v_dual_fmac_f32 v43, 0xbf167918, v69
	s_delay_alu instid0(VALU_DEP_4)
	v_dual_fmac_f32 v45, 0xbf167918, v67 :: v_dual_fmac_f32 v6, 0xbf167918, v89
	v_fmac_f32_e32 v5, 0x3f167918, v67
	v_add_f32_e32 v55, v83, v85
	v_dual_add_f32 v67, v74, v56 :: v_dual_fmamk_f32 v56, v79, 0x3f737871, v50
	v_fmac_f32_e32 v3, 0x3f167918, v69
	v_fmac_f32_e32 v50, 0xbf737871, v79
	;; [unrolled: 1-line block ×3, first 2 shown]
	v_dual_fmamk_f32 v58, v81, 0xbf737871, v0 :: v_dual_add_f32 v69, v86, v57
	v_fmac_f32_e32 v41, 0x3f167918, v101
	v_fmac_f32_e32 v0, 0x3f737871, v81
	v_fmamk_f32 v57, v102, 0xbf737871, v51
	v_fmac_f32_e32 v51, 0x3f737871, v102
	v_fmac_f32_e32 v47, 0xbf167918, v101
	v_dual_fmamk_f32 v59, v103, 0x3f737871, v1 :: v_dual_fmamk_f32 v98, v116, 0x3f737871, v96
	v_dual_fmac_f32 v1, 0xbf737871, v103 :: v_dual_add_f32 v74, v91, v60
	v_fmac_f32_e32 v7, 0x3f167918, v100
	v_fmac_f32_e32 v96, 0xbf737871, v116
	v_fmamk_f32 v100, v117, 0xbf737871, v92
	v_fmac_f32_e32 v92, 0x3f737871, v117
	v_fmamk_f32 v99, v158, 0xbf737871, v97
	;; [unrolled: 2-line block ×3, first 2 shown]
	v_fmac_f32_e32 v93, 0xbf737871, v159
	v_dual_add_f32 v115, v160, v161 :: v_dual_fmac_f32 v46, 0x3f167918, v90
	v_dual_add_f32 v53, v75, v77 :: v_dual_fmac_f32 v40, 0xbf167918, v90
	;; [unrolled: 1-line block ×3, first 2 shown]
	v_fmac_f32_e32 v45, 0x3e9e377a, v64
	v_fmac_f32_e32 v56, 0x3f167918, v81
	v_dual_fmac_f32 v4, 0x3e9e377a, v61 :: v_dual_fmac_f32 v5, 0x3e9e377a, v64
	v_dual_add_f32 v61, v69, v70 :: v_dual_fmac_f32 v98, 0x3f167918, v117
	v_dual_fmac_f32 v57, 0xbf167918, v103 :: v_dual_fmac_f32 v96, 0xbf167918, v117
	v_dual_fmac_f32 v51, 0x3f167918, v103 :: v_dual_fmac_f32 v100, 0x3f167918, v116
	;; [unrolled: 1-line block ×3, first 2 shown]
	v_fmac_f32_e32 v1, 0x3f167918, v102
	v_fmac_f32_e32 v99, 0xbf167918, v159
	;; [unrolled: 1-line block ×5, first 2 shown]
	v_dual_fmac_f32 v42, 0x3e9e377a, v113 :: v_dual_fmac_f32 v43, 0x3e9e377a, v63
	v_fmac_f32_e32 v50, 0xbf167918, v81
	v_fmac_f32_e32 v58, 0x3f167918, v79
	;; [unrolled: 1-line block ×3, first 2 shown]
	v_dual_add_f32 v94, v74, v62 :: v_dual_add_f32 v95, v75, v84
	v_dual_fmac_f32 v56, 0x3e9e377a, v78 :: v_dual_fmac_f32 v1, 0x3e9e377a, v88
	v_fmac_f32_e32 v98, 0x3e9e377a, v111
	v_dual_fmac_f32 v96, 0x3e9e377a, v111 :: v_dual_fmac_f32 v101, 0x3e9e377a, v72
	v_dual_fmac_f32 v100, 0x3e9e377a, v114 :: v_dual_fmac_f32 v99, 0x3e9e377a, v115
	;; [unrolled: 1-line block ×3, first 2 shown]
	v_fmac_f32_e32 v93, 0x3e9e377a, v72
	v_add_f32_e32 v60, v67, v68
	v_dual_fmac_f32 v2, 0x3e9e377a, v113 :: v_dual_fmac_f32 v3, 0x3e9e377a, v63
	v_dual_fmac_f32 v46, 0x3e9e377a, v65 :: v_dual_fmac_f32 v47, 0x3e9e377a, v71
	;; [unrolled: 1-line block ×8, first 2 shown]
	ds_store_2addr_b64 v177, v[52:53], v[42:43] offset1:5
	ds_store_2addr_b64 v177, v[44:45], v[4:5] offset0:10 offset1:15
	ds_store_b64 v177, v[2:3] offset:160
	ds_store_2addr_b64 v176, v[54:55], v[46:47] offset1:5
	ds_store_2addr_b64 v176, v[48:49], v[6:7] offset0:10 offset1:15
	ds_store_b64 v176, v[40:41] offset:160
	;; [unrolled: 3-line block ×3, first 2 shown]
	s_and_saveexec_b32 s2, vcc_lo
	s_cbranch_execz .LBB0_11
; %bb.10:
	v_and_b32_e32 v0, 0xffff, v174
	s_delay_alu instid0(VALU_DEP_1)
	v_lshlrev_b32_e32 v0, 3, v0
	ds_store_2addr_b64 v0, v[94:95], v[98:99] offset1:5
	ds_store_2addr_b64 v0, v[100:101], v[92:93] offset0:10 offset1:15
	ds_store_b64 v0, v[96:97] offset:160
.LBB0_11:
	s_wait_alu 0xfffe
	s_or_b32 exec_lo, exec_lo, s2
	v_add_nc_u32_e32 v0, 0x600, v172
	global_wb scope:SCOPE_SE
	s_wait_dscnt 0x0
	s_barrier_signal -1
	s_barrier_wait -1
	global_inv scope:SCOPE_SE
	ds_load_2addr_b64 v[68:71], v172 offset1:125
	ds_load_2addr_b64 v[64:67], v0 offset0:58 offset1:208
	v_add_nc_u32_e32 v0, 0x1800, v172
	v_add_nc_u32_e32 v1, 0x2000, v172
	;; [unrolled: 1-line block ×5, first 2 shown]
	ds_load_2addr_b64 v[88:91], v0 offset0:32 offset1:157
	ds_load_2addr_b64 v[72:75], v1 offset0:26 offset1:176
	;; [unrolled: 1-line block ×5, first 2 shown]
	ds_load_b64 v[102:103], v172 offset:14800
	s_and_saveexec_b32 s2, vcc_lo
	s_cbranch_execz .LBB0_13
; %bb.12:
	ds_load_b64 v[94:95], v172 offset:3000
	ds_load_b64 v[98:99], v172 offset:6200
	;; [unrolled: 1-line block ×5, first 2 shown]
.LBB0_13:
	s_wait_alu 0xfffe
	s_or_b32 exec_lo, exec_lo, s2
	v_mul_lo_u16 v0, v109, 41
	s_delay_alu instid0(VALU_DEP_1) | instskip(SKIP_1) | instid1(VALU_DEP_2)
	v_lshrrev_b16 v109, 10, v0
	v_mul_lo_u16 v0, v110, 41
	v_mul_lo_u16 v1, v109, 25
	s_delay_alu instid0(VALU_DEP_2) | instskip(NEXT) | instid1(VALU_DEP_2)
	v_lshrrev_b16 v110, 10, v0
	v_sub_nc_u16 v0, v173, v1
	s_delay_alu instid0(VALU_DEP_2) | instskip(NEXT) | instid1(VALU_DEP_2)
	v_mul_lo_u16 v1, v110, 25
	v_and_b32_e32 v111, 0xff, v0
	s_delay_alu instid0(VALU_DEP_2) | instskip(NEXT) | instid1(VALU_DEP_2)
	v_sub_nc_u16 v0, v106, v1
	v_lshlrev_b32_e32 v1, 5, v111
	global_load_b128 v[56:59], v1, s[0:1] offset:160
	v_and_b32_e32 v106, 0xff, v0
	s_delay_alu instid0(VALU_DEP_1)
	v_lshlrev_b32_e32 v0, 5, v106
	s_clause 0x2
	global_load_b128 v[48:51], v1, s[0:1] offset:176
	global_load_b128 v[44:47], v0, s[0:1] offset:160
	;; [unrolled: 1-line block ×3, first 2 shown]
	v_mul_u32_u24_e32 v0, 0x47af, v108
	v_mul_u32_u24_e32 v1, 0x47af, v107
	v_and_b32_e32 v108, 0xffff, v109
	v_and_b32_e32 v109, 0xffff, v110
	s_delay_alu instid0(VALU_DEP_4) | instskip(NEXT) | instid1(VALU_DEP_4)
	v_lshrrev_b32_e32 v0, 16, v0
	v_lshrrev_b32_e32 v1, 16, v1
	s_delay_alu instid0(VALU_DEP_2) | instskip(NEXT) | instid1(VALU_DEP_2)
	v_sub_nc_u16 v2, v104, v0
	v_sub_nc_u16 v3, v105, v1
	s_delay_alu instid0(VALU_DEP_2) | instskip(NEXT) | instid1(VALU_DEP_1)
	v_lshrrev_b16 v2, 1, v2
	v_add_nc_u16 v0, v2, v0
	s_delay_alu instid0(VALU_DEP_3) | instskip(NEXT) | instid1(VALU_DEP_2)
	v_lshrrev_b16 v2, 1, v3
	v_lshrrev_b16 v107, 4, v0
	s_delay_alu instid0(VALU_DEP_2) | instskip(NEXT) | instid1(VALU_DEP_2)
	v_add_nc_u16 v0, v2, v1
	v_mul_lo_u16 v1, v107, 25
	s_delay_alu instid0(VALU_DEP_2) | instskip(NEXT) | instid1(VALU_DEP_2)
	v_lshrrev_b16 v0, 4, v0
	v_sub_nc_u16 v104, v104, v1
	s_delay_alu instid0(VALU_DEP_2) | instskip(NEXT) | instid1(VALU_DEP_2)
	v_mul_lo_u16 v0, v0, 25
	v_lshlrev_b16 v1, 5, v104
	s_delay_alu instid0(VALU_DEP_2) | instskip(SKIP_1) | instid1(VALU_DEP_3)
	v_sub_nc_u16 v105, v105, v0
	v_mad_u16 v104, 0x7d, v107, v104
	v_and_b32_e32 v0, 0xffff, v1
	s_delay_alu instid0(VALU_DEP_3) | instskip(NEXT) | instid1(VALU_DEP_3)
	v_lshlrev_b16 v2, 5, v105
	v_and_b32_e32 v104, 0xffff, v104
	v_and_b32_e32 v182, 0xffff, v105
	s_wait_loadcnt_dscnt 0x306
	s_delay_alu instid0(VALU_DEP_3) | instskip(SKIP_1) | instid1(VALU_DEP_1)
	v_dual_mul_f32 v105, v66, v57 :: v_dual_and_b32 v2, 0xffff, v2
	s_wait_loadcnt_dscnt 0x203
	v_dual_fmac_f32 v105, v67, v56 :: v_dual_mul_f32 v110, v85, v51
	s_wait_loadcnt 0x1
	v_mul_f32_e32 v115, v90, v47
	v_mul_u32_u24_e32 v107, 0x7d, v108
	s_wait_dscnt 0x2
	v_dual_mul_f32 v113, v80, v45 :: v_dual_lshlrev_b32 v184, 3, v104
	s_wait_loadcnt_dscnt 0x1
	v_mul_f32_e32 v117, v76, v41
	v_mul_f32_e32 v104, v67, v57
	v_add_lshl_u32 v185, v107, v111, 3
	v_mul_f32_e32 v111, v84, v51
	v_add_co_u32 v0, s2, s0, v0
	s_wait_alu 0xf1ff
	v_add_co_ci_u32_e64 v1, null, s1, 0, s2
	v_mul_u32_u24_e32 v108, 0x7d, v109
	v_mul_f32_e32 v109, v74, v49
	v_add_co_u32 v2, s2, s0, v2
	s_wait_alu 0xf1ff
	v_add_co_ci_u32_e64 v3, null, s1, 0, s2
	s_clause 0x3
	global_load_b128 v[60:63], v[0:1], off offset:160
	global_load_b128 v[52:55], v[0:1], off offset:176
	;; [unrolled: 1-line block ×4, first 2 shown]
	v_add_lshl_u32 v183, v108, v106, 3
	v_mul_f32_e32 v106, v89, v59
	v_dual_mul_f32 v107, v88, v59 :: v_dual_mul_f32 v108, v75, v49
	v_dual_mul_f32 v112, v81, v45 :: v_dual_fmac_f32 v109, v75, v48
	s_delay_alu instid0(VALU_DEP_2)
	v_dual_mul_f32 v114, v91, v47 :: v_dual_fmac_f32 v107, v89, v58
	v_dual_mul_f32 v116, v77, v41 :: v_dual_fmac_f32 v115, v91, v46
	;; [unrolled: 1-line block ×3, first 2 shown]
	v_mul_f32_e32 v119, v86, v43
	v_fma_f32 v66, v66, v56, -v104
	v_fma_f32 v67, v88, v58, -v106
	;; [unrolled: 1-line block ×5, first 2 shown]
	v_fmac_f32_e32 v113, v81, v44
	v_fma_f32 v84, v90, v46, -v114
	v_fma_f32 v90, v76, v40, -v116
	v_dual_add_f32 v76, v68, v66 :: v_dual_fmac_f32 v117, v77, v40
	v_sub_f32_e32 v112, v107, v109
	v_fma_f32 v108, v86, v42, -v118
	v_dual_fmac_f32 v119, v87, v42 :: v_dual_sub_f32 v110, v105, v111
	v_dual_add_f32 v77, v67, v74 :: v_dual_add_f32 v86, v66, v75
	v_dual_sub_f32 v81, v66, v67 :: v_dual_sub_f32 v116, v67, v74
	v_dual_sub_f32 v85, v75, v74 :: v_dual_sub_f32 v88, v74, v75
	;; [unrolled: 1-line block ×3, first 2 shown]
	v_dual_add_f32 v89, v69, v105 :: v_dual_add_f32 v154, v84, v90
	v_dual_add_f32 v91, v107, v109 :: v_dual_sub_f32 v66, v105, v107
	v_dual_sub_f32 v104, v111, v109 :: v_dual_add_f32 v153, v70, v80
	v_dual_add_f32 v106, v105, v111 :: v_dual_sub_f32 v105, v107, v105
	v_dual_sub_f32 v118, v109, v111 :: v_dual_sub_f32 v157, v80, v84
	v_dual_add_f32 v159, v80, v108 :: v_dual_add_f32 v162, v71, v113
	v_dual_sub_f32 v160, v84, v80 :: v_dual_add_f32 v163, v115, v117
	v_add_f32_e32 v168, v113, v119
	v_dual_sub_f32 v155, v113, v119 :: v_dual_sub_f32 v156, v115, v117
	v_dual_sub_f32 v158, v108, v90 :: v_dual_sub_f32 v161, v90, v108
	v_dual_sub_f32 v164, v80, v108 :: v_dual_sub_f32 v167, v119, v117
	v_dual_sub_f32 v165, v84, v90 :: v_dual_sub_f32 v166, v113, v115
	v_sub_f32_e32 v113, v115, v113
	v_dual_sub_f32 v169, v117, v119 :: v_dual_add_f32 v186, v66, v104
	v_dual_add_f32 v67, v76, v67 :: v_dual_add_f32 v170, v81, v85
	v_fma_f32 v76, -0.5, v77, v68
	v_fma_f32 v80, -0.5, v86, v68
	v_dual_add_f32 v171, v87, v88 :: v_dual_add_f32 v68, v89, v107
	v_fma_f32 v77, -0.5, v91, v69
	v_fma_f32 v81, -0.5, v106, v69
	v_dual_add_f32 v118, v105, v118 :: v_dual_add_f32 v69, v162, v115
	v_dual_add_f32 v66, v153, v84 :: v_dual_add_f32 v115, v166, v167
	v_fma_f32 v84, -0.5, v154, v70
	v_fma_f32 v70, -0.5, v159, v70
	;; [unrolled: 1-line block ×3, first 2 shown]
	v_dual_fmac_f32 v71, -0.5, v168 :: v_dual_add_f32 v74, v67, v74
	v_dual_add_f32 v153, v157, v158 :: v_dual_add_f32 v154, v160, v161
	v_dual_add_f32 v113, v113, v169 :: v_dual_fmamk_f32 v86, v110, 0x3f737871, v76
	v_dual_fmac_f32 v76, 0xbf737871, v110 :: v_dual_add_f32 v107, v68, v109
	v_dual_fmamk_f32 v88, v112, 0xbf737871, v80 :: v_dual_fmamk_f32 v87, v114, 0xbf737871, v77
	v_dual_fmac_f32 v80, 0x3f737871, v112 :: v_dual_fmac_f32 v77, 0x3f737871, v114
	v_fmamk_f32 v89, v116, 0x3f737871, v81
	v_fmac_f32_e32 v81, 0xbf737871, v116
	v_dual_add_f32 v109, v66, v90 :: v_dual_fmamk_f32 v104, v156, 0xbf737871, v70
	v_fmamk_f32 v90, v155, 0x3f737871, v84
	v_dual_fmac_f32 v70, 0x3f737871, v156 :: v_dual_add_f32 v117, v69, v117
	v_fmamk_f32 v91, v164, 0xbf737871, v85
	v_fmac_f32_e32 v85, 0x3f737871, v164
	v_fmamk_f32 v105, v165, 0x3f737871, v71
	v_dual_fmac_f32 v71, 0xbf737871, v165 :: v_dual_fmac_f32 v84, 0xbf737871, v155
	v_dual_add_f32 v107, v107, v111 :: v_dual_add_f32 v108, v109, v108
	v_dual_fmac_f32 v87, 0xbf167918, v116 :: v_dual_fmac_f32 v70, 0xbf167918, v155
	v_dual_fmac_f32 v77, 0x3f167918, v116 :: v_dual_fmac_f32 v104, 0x3f167918, v155
	s_delay_alu instid0(VALU_DEP_4)
	v_dual_fmac_f32 v89, 0xbf167918, v114 :: v_dual_fmac_f32 v84, 0xbf167918, v156
	global_wb scope:SCOPE_SE
	s_wait_loadcnt_dscnt 0x0
	s_barrier_signal -1
	s_barrier_wait -1
	global_inv scope:SCOPE_SE
	v_fmac_f32_e32 v76, 0xbf167918, v112
	v_fmac_f32_e32 v86, 0x3f167918, v112
	;; [unrolled: 1-line block ×3, first 2 shown]
	v_add_f32_e32 v106, v74, v75
	v_fmac_f32_e32 v80, 0xbf167918, v110
	v_fmac_f32_e32 v90, 0x3f167918, v156
	;; [unrolled: 1-line block ×4, first 2 shown]
	v_dual_fmac_f32 v88, 0x3e9e377a, v171 :: v_dual_fmac_f32 v87, 0x3e9e377a, v186
	v_fmac_f32_e32 v84, 0x3e9e377a, v153
	v_fmac_f32_e32 v76, 0x3e9e377a, v170
	v_dual_fmac_f32 v80, 0x3e9e377a, v171 :: v_dual_fmac_f32 v77, 0x3e9e377a, v186
	v_fmac_f32_e32 v90, 0x3e9e377a, v153
	v_dual_mul_f32 v157, v83, v61 :: v_dual_mul_f32 v168, v101, v7
	v_dual_mul_f32 v158, v82, v61 :: v_dual_mul_f32 v159, v73, v63
	;; [unrolled: 1-line block ×3, first 2 shown]
	v_mul_f32_e32 v68, v100, v7
	v_dual_mul_f32 v162, v78, v53 :: v_dual_mul_f32 v163, v103, v55
	v_dual_mul_f32 v166, v102, v55 :: v_dual_mul_f32 v167, v99, v5
	;; [unrolled: 1-line block ×3, first 2 shown]
	v_mul_f32_e32 v169, v93, v1
	v_mul_f32_e32 v67, v92, v1
	;; [unrolled: 1-line block ×3, first 2 shown]
	v_dual_fmac_f32 v81, 0x3f167918, v114 :: v_dual_fmac_f32 v158, v83, v60
	v_dual_add_f32 v109, v117, v119 :: v_dual_fmac_f32 v162, v79, v52
	v_dual_fmac_f32 v91, 0xbf167918, v165 :: v_dual_fmac_f32 v160, v73, v62
	v_dual_fmac_f32 v85, 0x3f167918, v165 :: v_dual_fmac_f32 v166, v103, v54
	;; [unrolled: 1-line block ×4, first 2 shown]
	v_fma_f32 v82, v82, v60, -v157
	v_fma_f32 v83, v72, v62, -v159
	;; [unrolled: 1-line block ×5, first 2 shown]
	v_fmac_f32_e32 v69, v99, v4
	v_fma_f32 v75, v100, v6, -v168
	v_fma_f32 v73, v92, v0, -v169
	v_fmac_f32_e32 v67, v93, v0
	v_fma_f32 v72, v96, v2, -v187
	v_dual_fmac_f32 v104, 0x3e9e377a, v154 :: v_dual_fmac_f32 v91, 0x3e9e377a, v115
	v_dual_fmac_f32 v70, 0x3e9e377a, v154 :: v_dual_fmac_f32 v85, 0x3e9e377a, v115
	v_dual_fmac_f32 v105, 0x3e9e377a, v113 :: v_dual_add_f32 v92, v83, v78
	v_dual_add_f32 v79, v64, v82 :: v_dual_sub_f32 v112, v158, v160
	v_dual_sub_f32 v93, v158, v166 :: v_dual_sub_f32 v154, v72, v73
	v_dual_sub_f32 v98, v102, v78 :: v_dual_add_f32 v117, v75, v73
	v_add_f32_e32 v99, v82, v102
	v_dual_add_f32 v103, v65, v158 :: v_dual_add_f32 v156, v74, v72
	v_dual_add_f32 v110, v160, v162 :: v_dual_sub_f32 v153, v74, v75
	v_dual_add_f32 v114, v158, v166 :: v_dual_sub_f32 v159, v73, v72
	v_sub_f32_e32 v115, v160, v158
	v_dual_sub_f32 v116, v162, v166 :: v_dual_add_f32 v161, v68, v67
	v_dual_sub_f32 v158, v75, v74 :: v_dual_sub_f32 v163, v69, v68
	v_dual_sub_f32 v167, v66, v67 :: v_dual_add_f32 v168, v69, v66
	v_fmac_f32_e32 v81, 0x3e9e377a, v118
	v_dual_fmac_f32 v71, 0x3e9e377a, v113 :: v_dual_sub_f32 v96, v160, v162
	v_dual_sub_f32 v97, v82, v83 :: v_dual_sub_f32 v100, v83, v82
	v_dual_sub_f32 v82, v82, v102 :: v_dual_sub_f32 v119, v68, v67
	;; [unrolled: 1-line block ×5, first 2 shown]
	ds_store_2addr_b64 v185, v[106:107], v[86:87] offset1:25
	ds_store_2addr_b64 v185, v[88:89], v[80:81] offset0:50 offset1:75
	ds_store_b64 v185, v[76:77] offset:800
	ds_store_2addr_b64 v183, v[108:109], v[90:91] offset1:25
	ds_store_2addr_b64 v183, v[104:105], v[70:71] offset0:50 offset1:75
	v_add_f32_e32 v76, v79, v83
	v_fma_f32 v70, -0.5, v92, v64
	v_fma_f32 v64, -0.5, v99, v64
	v_dual_add_f32 v77, v103, v160 :: v_dual_add_f32 v92, v169, v170
	v_fma_f32 v71, -0.5, v110, v65
	v_fmac_f32_e32 v65, -0.5, v114
	v_fma_f32 v155, -0.5, v117, v94
	v_fma_f32 v157, -0.5, v156, v94
	v_add_f32_e32 v90, v158, v159
	v_fma_f32 v156, -0.5, v161, v95
	v_fma_f32 v158, -0.5, v168, v95
	v_dual_sub_f32 v101, v78, v102 :: v_dual_add_f32 v88, v115, v116
	v_sub_f32_e32 v113, v166, v162
	v_dual_add_f32 v91, v163, v167 :: v_dual_add_f32 v80, v76, v78
	v_dual_fmamk_f32 v78, v96, 0xbf737871, v64 :: v_dual_add_f32 v81, v77, v162
	v_fmamk_f32 v160, v118, 0x3f737871, v155
	v_fmamk_f32 v77, v82, 0xbf737871, v71
	v_fmac_f32_e32 v71, 0x3f737871, v82
	v_dual_fmamk_f32 v79, v111, 0x3f737871, v65 :: v_dual_add_f32 v80, v80, v102
	v_fmac_f32_e32 v65, 0xbf737871, v111
	v_fmac_f32_e32 v155, 0xbf737871, v118
	v_dual_fmamk_f32 v162, v119, 0xbf737871, v157 :: v_dual_fmamk_f32 v161, v164, 0xbf737871, v156
	v_dual_fmac_f32 v157, 0x3f737871, v119 :: v_dual_fmac_f32 v156, 0x3f737871, v164
	v_fmamk_f32 v163, v165, 0x3f737871, v158
	v_dual_fmac_f32 v158, 0xbf737871, v165 :: v_dual_add_f32 v83, v97, v98
	v_add_f32_e32 v86, v100, v101
	v_dual_add_f32 v87, v112, v113 :: v_dual_fmamk_f32 v76, v93, 0x3f737871, v70
	v_dual_fmac_f32 v70, 0xbf737871, v93 :: v_dual_add_f32 v89, v153, v154
	v_fmac_f32_e32 v64, 0x3f737871, v96
	v_dual_fmac_f32 v65, 0x3f167918, v82 :: v_dual_fmac_f32 v160, 0x3f167918, v119
	v_fmac_f32_e32 v155, 0xbf167918, v119
	v_fmac_f32_e32 v162, 0x3f167918, v118
	;; [unrolled: 1-line block ×7, first 2 shown]
	v_dual_fmac_f32 v76, 0x3f167918, v96 :: v_dual_add_f32 v81, v81, v166
	v_dual_fmac_f32 v70, 0xbf167918, v96 :: v_dual_fmac_f32 v77, 0xbf167918, v111
	v_dual_fmac_f32 v78, 0x3f167918, v93 :: v_dual_fmac_f32 v71, 0x3f167918, v111
	v_dual_fmac_f32 v64, 0xbf167918, v93 :: v_dual_fmac_f32 v79, 0xbf167918, v82
	v_dual_fmac_f32 v160, 0x3e9e377a, v89 :: v_dual_fmac_f32 v157, 0x3e9e377a, v90
	v_dual_fmac_f32 v155, 0x3e9e377a, v89 :: v_dual_fmac_f32 v162, 0x3e9e377a, v90
	v_dual_fmac_f32 v161, 0x3e9e377a, v91 :: v_dual_fmac_f32 v158, 0x3e9e377a, v92
	v_dual_fmac_f32 v156, 0x3e9e377a, v91 :: v_dual_fmac_f32 v163, 0x3e9e377a, v92
	v_dual_fmac_f32 v76, 0x3e9e377a, v83 :: v_dual_fmac_f32 v79, 0x3e9e377a, v88
	v_dual_fmac_f32 v78, 0x3e9e377a, v86 :: v_dual_fmac_f32 v77, 0x3e9e377a, v87
	v_dual_fmac_f32 v70, 0x3e9e377a, v83 :: v_dual_fmac_f32 v65, 0x3e9e377a, v88
	v_dual_fmac_f32 v64, 0x3e9e377a, v86 :: v_dual_fmac_f32 v71, 0x3e9e377a, v87
	ds_store_b64 v183, v[84:85] offset:800
	ds_store_2addr_b64 v184, v[80:81], v[76:77] offset1:25
	ds_store_2addr_b64 v184, v[78:79], v[64:65] offset0:50 offset1:75
	ds_store_b64 v184, v[70:71] offset:800
	s_and_saveexec_b32 s2, vcc_lo
	s_cbranch_execz .LBB0_15
; %bb.14:
	v_dual_add_f32 v64, v95, v69 :: v_dual_add_f32 v65, v94, v74
	s_delay_alu instid0(VALU_DEP_1) | instskip(SKIP_1) | instid1(VALU_DEP_2)
	v_dual_add_f32 v64, v64, v68 :: v_dual_add_f32 v65, v65, v75
	v_lshlrev_b32_e32 v68, 3, v182
	v_dual_add_f32 v64, v64, v67 :: v_dual_add_f32 v67, v65, v73
	s_delay_alu instid0(VALU_DEP_2) | instskip(NEXT) | instid1(VALU_DEP_2)
	v_add_nc_u32_e32 v69, 0x3800, v68
	v_dual_add_f32 v65, v64, v66 :: v_dual_add_f32 v64, v67, v72
	ds_store_2addr_b64 v69, v[162:163], v[157:158] offset0:133 offset1:158
	ds_store_2addr_b64 v69, v[64:65], v[160:161] offset0:83 offset1:108
	ds_store_b64 v68, v[155:156] offset:15800
.LBB0_15:
	s_wait_alu 0xfffe
	s_or_b32 exec_lo, exec_lo, s2
	v_mad_co_u64_u32 v[92:93], null, 0x78, v173, s[0:1]
	global_wb scope:SCOPE_SE
	s_wait_dscnt 0x0
	s_barrier_signal -1
	s_barrier_wait -1
	global_inv scope:SCOPE_SE
	s_add_nc_u64 s[0:1], s[16:17], 0x3e80
	s_clause 0x7
	global_load_b128 v[88:91], v[92:93], off offset:960
	global_load_b128 v[80:83], v[92:93], off offset:976
	;; [unrolled: 1-line block ×7, first 2 shown]
	global_load_b64 v[153:154], v[92:93], off offset:1072
	ds_load_2addr_b64 v[98:101], v172 offset1:125
	v_add_nc_u32_e32 v159, 0x400, v172
	s_wait_loadcnt_dscnt 0x700
	v_dual_mul_f32 v119, v100, v89 :: v_dual_add_nc_u32 v92, 0x1400, v172
	v_mul_f32_e32 v118, v101, v89
	ds_load_2addr_b64 v[102:105], v159 offset0:122 offset1:247
	v_add_nc_u32_e32 v93, 0xc00, v172
	v_add_nc_u32_e32 v94, 0x1c00, v172
	;; [unrolled: 1-line block ×4, first 2 shown]
	ds_load_2addr_b64 v[110:113], v92 offset0:110 offset1:235
	v_fma_f32 v100, v100, v88, -v118
	s_wait_loadcnt_dscnt 0x601
	v_dual_mul_f32 v193, v104, v81 :: v_dual_mul_f32 v190, v103, v91
	ds_load_2addr_b64 v[106:109], v93 offset0:116 offset1:241
	v_add_nc_u32_e32 v95, 0x3400, v172
	v_dual_mul_f32 v191, v102, v91 :: v_dual_mul_f32 v192, v105, v81
	s_wait_loadcnt_dscnt 0x401
	v_dual_mul_f32 v199, v110, v75 :: v_dual_mul_f32 v200, v113, v65
	v_mul_f32_e32 v198, v111, v75
	s_wait_dscnt 0x0
	v_mul_f32_e32 v194, v107, v83
	ds_load_2addr_b64 v[114:117], v94 offset0:104 offset1:229
	ds_load_2addr_b64 v[164:167], v97 offset0:98 offset1:223
	ds_load_2addr_b64 v[168:171], v96 offset0:92 offset1:217
	ds_load_2addr_b64 v[186:189], v95 offset0:86 offset1:211
	v_dual_mul_f32 v195, v106, v83 :: v_dual_mul_f32 v196, v109, v73
	v_mul_f32_e32 v197, v108, v73
	s_wait_dscnt 0x3
	v_dual_mul_f32 v201, v112, v65 :: v_dual_mul_f32 v202, v115, v67
	s_wait_loadcnt 0x3
	v_dual_mul_f32 v203, v114, v67 :: v_dual_mul_f32 v204, v117, v85
	s_wait_loadcnt_dscnt 0x201
	v_dual_mul_f32 v209, v166, v77 :: v_dual_mul_f32 v210, v169, v79
	s_wait_loadcnt 0x1
	v_dual_mul_f32 v211, v168, v79 :: v_dual_mul_f32 v212, v171, v69
	s_wait_loadcnt_dscnt 0x0
	v_dual_mul_f32 v215, v186, v71 :: v_dual_mul_f32 v216, v189, v154
	v_fmac_f32_e32 v209, v167, v76
	v_fmac_f32_e32 v199, v111, v74
	v_dual_mul_f32 v205, v116, v85 :: v_dual_mul_f32 v206, v165, v87
	s_delay_alu instid0(VALU_DEP_4)
	v_fmac_f32_e32 v215, v187, v70
	v_fmac_f32_e32 v119, v101, v88
	v_fma_f32 v101, v102, v90, -v190
	v_fma_f32 v102, v104, v80, -v192
	;; [unrolled: 1-line block ×4, first 2 shown]
	v_fmac_f32_e32 v191, v103, v90
	v_fma_f32 v103, v106, v82, -v194
	v_fma_f32 v106, v112, v64, -v200
	;; [unrolled: 1-line block ×3, first 2 shown]
	v_dual_sub_f32 v108, v100, v108 :: v_dual_fmac_f32 v195, v107, v82
	v_fma_f32 v107, v114, v66, -v202
	v_fma_f32 v114, v188, v153, -v216
	s_delay_alu instid0(VALU_DEP_4) | instskip(NEXT) | instid1(VALU_DEP_4)
	v_sub_f32_e32 v112, v104, v112
	v_fma_f32 v100, v100, 2.0, -v108
	v_dual_mul_f32 v207, v164, v87 :: v_dual_mul_f32 v208, v167, v77
	s_delay_alu instid0(VALU_DEP_4) | instskip(NEXT) | instid1(VALU_DEP_4)
	v_dual_fmac_f32 v201, v113, v64 :: v_dual_sub_f32 v114, v106, v114
	v_fma_f32 v104, v104, 2.0, -v112
	v_fmac_f32_e32 v205, v117, v84
	v_dual_mul_f32 v213, v170, v69 :: v_dual_mul_f32 v214, v187, v71
	s_delay_alu instid0(VALU_DEP_4) | instskip(NEXT) | instid1(VALU_DEP_4)
	v_fma_f32 v106, v106, 2.0, -v114
	v_sub_f32_e32 v104, v100, v104
	v_dual_sub_f32 v118, v199, v215 :: v_dual_fmac_f32 v193, v105, v80
	v_fma_f32 v105, v110, v74, -v198
	v_fma_f32 v110, v166, v76, -v208
	v_fmac_f32_e32 v197, v109, v72
	v_fma_f32 v109, v164, v86, -v206
	v_sub_f32_e32 v164, v119, v205
	v_sub_f32_e32 v166, v193, v209
	;; [unrolled: 1-line block ×3, first 2 shown]
	v_fma_f32 v113, v186, v70, -v214
	s_delay_alu instid0(VALU_DEP_4) | instskip(NEXT) | instid1(VALU_DEP_4)
	v_dual_fmac_f32 v203, v115, v66 :: v_dual_add_f32 v112, v164, v112
	v_fma_f32 v186, v193, 2.0, -v166
	v_sub_f32_e32 v109, v101, v109
	v_fma_f32 v170, v199, 2.0, -v118
	v_fma_f32 v102, v102, 2.0, -v110
	v_add_f32_e32 v114, v166, v114
	v_fma_f32 v111, v168, v78, -v210
	v_sub_f32_e32 v118, v109, v118
	v_fma_f32 v101, v101, 2.0, -v109
	v_sub_f32_e32 v106, v102, v106
	v_fma_f32 v119, v119, 2.0, -v164
	v_fma_f32 v166, v166, 2.0, -v114
	;; [unrolled: 1-line block ×3, first 2 shown]
	v_sub_f32_e32 v115, v99, v203
	v_fma_f32 v102, v102, 2.0, -v106
	v_fma_f32 v100, v100, 2.0, -v104
	s_delay_alu instid0(VALU_DEP_3) | instskip(SKIP_3) | instid1(VALU_DEP_2)
	v_fma_f32 v99, v99, 2.0, -v115
	v_fmac_f32_e32 v211, v169, v78
	v_mul_f32_e32 v217, v188, v154
	v_fma_f32 v188, v164, 2.0, -v112
	v_dual_sub_f32 v116, v195, v211 :: v_dual_fmac_f32 v217, v189, v153
	s_delay_alu instid0(VALU_DEP_1) | instskip(NEXT) | instid1(VALU_DEP_2)
	v_fma_f32 v168, v195, 2.0, -v116
	v_sub_f32_e32 v167, v201, v217
	s_delay_alu instid0(VALU_DEP_2) | instskip(NEXT) | instid1(VALU_DEP_2)
	v_dual_fmamk_f32 v195, v166, 0xbf3504f3, v188 :: v_dual_sub_f32 v168, v99, v168
	v_fma_f32 v187, v201, 2.0, -v167
	v_sub_f32_e32 v167, v110, v167
	v_sub_f32_e32 v107, v98, v107
	v_fmac_f32_e32 v207, v165, v86
	v_fma_f32 v193, v99, 2.0, -v168
	v_sub_f32_e32 v164, v186, v187
	v_fma_f32 v110, v110, 2.0, -v167
	v_dual_sub_f32 v116, v107, v116 :: v_dual_sub_f32 v113, v105, v113
	s_delay_alu instid0(VALU_DEP_2) | instskip(NEXT) | instid1(VALU_DEP_2)
	v_fmac_f32_e32 v195, 0x3f3504f3, v110
	v_fmamk_f32 v187, v118, 0x3f3504f3, v116
	s_delay_alu instid0(VALU_DEP_3) | instskip(NEXT) | instid1(VALU_DEP_3)
	v_fma_f32 v105, v105, 2.0, -v113
	v_fma_f32 v188, v188, 2.0, -v195
	s_delay_alu instid0(VALU_DEP_2) | instskip(SKIP_1) | instid1(VALU_DEP_1)
	v_sub_f32_e32 v105, v101, v105
	v_sub_f32_e32 v117, v191, v207
	v_fma_f32 v169, v191, 2.0, -v117
	v_fmac_f32_e32 v213, v171, v68
	v_add_f32_e32 v113, v117, v113
	s_delay_alu instid0(VALU_DEP_3) | instskip(NEXT) | instid1(VALU_DEP_3)
	v_dual_fmamk_f32 v191, v114, 0x3f3504f3, v112 :: v_dual_sub_f32 v170, v169, v170
	v_sub_f32_e32 v165, v197, v213
	s_delay_alu instid0(VALU_DEP_3) | instskip(SKIP_1) | instid1(VALU_DEP_4)
	v_fma_f32 v117, v117, 2.0, -v113
	v_sub_f32_e32 v111, v103, v111
	v_fma_f32 v99, v169, 2.0, -v170
	s_delay_alu instid0(VALU_DEP_4) | instskip(NEXT) | instid1(VALU_DEP_3)
	v_fma_f32 v171, v197, 2.0, -v165
	v_fma_f32 v103, v103, 2.0, -v111
	s_delay_alu instid0(VALU_DEP_2) | instskip(NEXT) | instid1(VALU_DEP_1)
	v_sub_f32_e32 v171, v119, v171
	v_dual_add_f32 v196, v171, v106 :: v_dual_sub_f32 v165, v108, v165
	s_delay_alu instid0(VALU_DEP_1) | instskip(SKIP_2) | instid1(VALU_DEP_2)
	v_fmamk_f32 v190, v167, 0x3f3504f3, v165
	v_fma_f32 v98, v98, 2.0, -v107
	v_fma_f32 v107, v107, 2.0, -v116
	v_dual_fmac_f32 v190, 0xbf3504f3, v114 :: v_dual_sub_f32 v103, v98, v103
	s_delay_alu instid0(VALU_DEP_1) | instskip(SKIP_4) | instid1(VALU_DEP_4)
	v_fma_f32 v192, v98, 2.0, -v103
	v_fma_f32 v98, v101, 2.0, -v105
	;; [unrolled: 1-line block ×4, first 2 shown]
	v_dual_fmamk_f32 v186, v109, 0xbf3504f3, v107 :: v_dual_add_f32 v111, v115, v111
	v_sub_f32_e32 v114, v192, v98
	s_delay_alu instid0(VALU_DEP_3) | instskip(SKIP_1) | instid1(VALU_DEP_4)
	v_sub_f32_e32 v106, v101, v119
	v_fma_f32 v108, v108, 2.0, -v165
	v_fmamk_f32 v189, v113, 0x3f3504f3, v111
	v_fma_f32 v115, v115, 2.0, -v111
	v_fmac_f32_e32 v186, 0xbf3504f3, v117
	v_fmac_f32_e32 v191, 0x3f3504f3, v167
	s_delay_alu instid0(VALU_DEP_4)
	v_fmac_f32_e32 v189, 0x3f3504f3, v118
	v_fmamk_f32 v118, v110, 0xbf3504f3, v108
	v_fmamk_f32 v194, v117, 0xbf3504f3, v115
	v_fma_f32 v110, v101, 2.0, -v106
	v_fma_f32 v112, v112, 2.0, -v191
	v_fma_f32 v198, v111, 2.0, -v189
	v_dual_fmac_f32 v118, 0xbf3504f3, v166 :: v_dual_fmac_f32 v187, 0xbf3504f3, v113
	v_fma_f32 v166, v165, 2.0, -v190
	v_dual_fmac_f32 v194, 0x3f3504f3, v109 :: v_dual_sub_f32 v167, v193, v99
	s_delay_alu instid0(VALU_DEP_3) | instskip(NEXT) | instid1(VALU_DEP_4)
	v_fma_f32 v200, v108, 2.0, -v118
	v_fma_f32 v197, v116, 2.0, -v187
	v_dual_sub_f32 v113, v104, v164 :: v_dual_fmamk_f32 v164, v190, 0x3f6c835e, v187
	s_delay_alu instid0(VALU_DEP_4) | instskip(SKIP_1) | instid1(VALU_DEP_3)
	v_fma_f32 v199, v115, 2.0, -v194
	v_fmamk_f32 v165, v191, 0x3f6c835e, v189
	v_fma_f32 v116, v104, 2.0, -v113
	v_dual_sub_f32 v169, v103, v170 :: v_dual_add_f32 v170, v168, v105
	v_dual_sub_f32 v105, v100, v102 :: v_dual_fmac_f32 v164, 0xbec3ef15, v191
	v_fmamk_f32 v102, v166, 0xbec3ef15, v197
	s_delay_alu instid0(VALU_DEP_3) | instskip(SKIP_1) | instid1(VALU_DEP_4)
	v_fma_f32 v117, v103, 2.0, -v169
	v_sub_f32_e32 v104, v114, v106
	v_fma_f32 v109, v100, 2.0, -v105
	v_fmamk_f32 v106, v118, 0x3ec3ef15, v186
	v_fma_f32 v168, v168, 2.0, -v170
	v_fmamk_f32 v100, v116, 0xbf3504f3, v117
	v_fmamk_f32 v98, v113, 0x3f3504f3, v169
	v_fma_f32 v119, v171, 2.0, -v196
	v_fma_f32 v171, v192, 2.0, -v114
	;; [unrolled: 1-line block ×4, first 2 shown]
	v_fmamk_f32 v99, v196, 0x3f3504f3, v170
	v_add_f32_e32 v105, v167, v105
	s_delay_alu instid0(VALU_DEP_4)
	v_dual_sub_f32 v108, v171, v109 :: v_dual_sub_f32 v109, v192, v110
	v_fmac_f32_e32 v100, 0xbf3504f3, v119
	v_fmamk_f32 v110, v200, 0xbf6c835e, v193
	v_dual_fmamk_f32 v111, v188, 0xbf6c835e, v199 :: v_dual_fmac_f32 v102, 0xbf6c835e, v112
	v_fmamk_f32 v101, v119, 0xbf3504f3, v168
	v_fmamk_f32 v103, v112, 0xbec3ef15, v198
	;; [unrolled: 1-line block ×3, first 2 shown]
	v_fmac_f32_e32 v99, 0x3f3504f3, v113
	v_fmac_f32_e32 v110, 0xbec3ef15, v188
	;; [unrolled: 1-line block ×9, first 2 shown]
	v_fma_f32 v115, v170, 2.0, -v99
	v_fma_f32 v118, v171, 2.0, -v108
	;; [unrolled: 1-line block ×16, first 2 shown]
	ds_store_2addr_b64 v172, v[118:119], v[170:171] offset1:125
	ds_store_2addr_b64 v159, v[166:167], v[168:169] offset0:122 offset1:247
	ds_store_2addr_b64 v93, v[112:113], v[186:187] offset0:116 offset1:241
	ds_store_2addr_b64 v92, v[114:115], v[116:117] offset0:110 offset1:235
	ds_store_2addr_b64 v94, v[108:109], v[110:111] offset0:104 offset1:229
	ds_store_2addr_b64 v97, v[100:101], v[102:103] offset0:98 offset1:223
	ds_store_2addr_b64 v96, v[104:105], v[106:107] offset0:92 offset1:217
	ds_store_2addr_b64 v95, v[98:99], v[164:165] offset0:86 offset1:211
	global_wb scope:SCOPE_SE
	s_wait_dscnt 0x0
	s_barrier_signal -1
	s_barrier_wait -1
	global_inv scope:SCOPE_SE
	s_clause 0xe
	global_load_b64 v[98:99], v[120:121], off offset:16000
	global_load_b64 v[106:107], v172, s[0:1] offset:1000
	global_load_b64 v[117:118], v172, s[0:1] offset:14800
	;; [unrolled: 1-line block ×14, first 2 shown]
	ds_load_2addr_b64 v[100:103], v172 offset1:125
	ds_load_b64 v[220:221], v172 offset:14800
	s_wait_loadcnt_dscnt 0xd01
	v_dual_mul_f32 v119, v102, v107 :: v_dual_add_nc_u32 v108, 0x2800, v172
	s_wait_loadcnt_dscnt 0xc00
	v_mul_f32_e32 v159, v221, v118
	s_delay_alu instid0(VALU_DEP_2) | instskip(SKIP_3) | instid1(VALU_DEP_4)
	v_dual_fmac_f32 v119, v103, v106 :: v_dual_mul_f32 v104, v101, v99
	v_mul_f32_e32 v105, v100, v99
	v_mul_f32_e32 v99, v103, v107
	;; [unrolled: 1-line block ×3, first 2 shown]
	v_fma_f32 v104, v100, v98, -v104
	s_delay_alu instid0(VALU_DEP_4)
	v_dual_fmac_f32 v105, v101, v98 :: v_dual_add_nc_u32 v98, 0x600, v172
	v_add_nc_u32_e32 v101, 0x1800, v172
	v_add_nc_u32_e32 v100, 0x2000, v172
	v_fma_f32 v118, v102, v106, -v99
	ds_store_b64 v172, v[104:105]
	v_add_nc_u32_e32 v104, 0x1000, v172
	v_add_nc_u32_e32 v105, 0x3000, v172
	ds_load_2addr_b64 v[109:112], v98 offset0:58 offset1:208
	ds_load_2addr_b64 v[113:116], v101 offset0:32 offset1:157
	;; [unrolled: 1-line block ×6, first 2 shown]
	v_fma_f32 v106, v220, v117, -v159
	v_fmac_f32_e32 v107, v221, v117
	s_wait_loadcnt_dscnt 0xb05
	v_mul_f32_e32 v99, v112, v171
	v_mul_f32_e32 v103, v111, v171
	s_wait_loadcnt_dscnt 0xa04
	v_mul_f32_e32 v159, v114, v199
	v_mul_f32_e32 v171, v113, v199
	;; [unrolled: 3-line block ×3, first 2 shown]
	s_wait_loadcnt_dscnt 0x802
	v_mul_f32_e32 v221, v187, v203
	s_wait_loadcnt_dscnt 0x701
	v_dual_mul_f32 v201, v186, v203 :: v_dual_mul_f32 v222, v191, v205
	v_mul_f32_e32 v203, v190, v205
	s_wait_loadcnt 0x6
	v_mul_f32_e32 v205, v115, v207
	s_wait_loadcnt_dscnt 0x500
	v_mul_f32_e32 v224, v195, v209
	v_mul_f32_e32 v117, v194, v209
	s_wait_loadcnt 0x3
	v_mul_f32_e32 v226, v110, v213
	v_mul_f32_e32 v209, v109, v213
	;; [unrolled: 1-line block ×5, first 2 shown]
	s_wait_loadcnt 0x2
	v_mul_f32_e32 v227, v193, v215
	v_mul_f32_e32 v211, v192, v215
	s_wait_loadcnt 0x0
	v_mul_f32_e32 v228, v167, v219
	v_mul_f32_e32 v213, v166, v219
	;; [unrolled: 1-line block ×4, first 2 shown]
	v_fma_f32 v102, v111, v170, -v99
	v_fmac_f32_e32 v103, v112, v170
	v_fma_f32 v170, v113, v198, -v159
	v_fmac_f32_e32 v171, v114, v198
	;; [unrolled: 2-line block ×5, first 2 shown]
	v_fmac_f32_e32 v205, v116, v206
	v_fma_f32 v116, v194, v208, -v224
	v_fmac_f32_e32 v117, v195, v208
	v_fma_f32 v208, v109, v212, -v226
	;; [unrolled: 2-line block ×3, first 2 shown]
	v_fma_f32 v206, v188, v210, -v225
	v_fmac_f32_e32 v207, v189, v210
	v_fma_f32 v210, v192, v214, -v227
	v_fmac_f32_e32 v211, v193, v214
	;; [unrolled: 2-line block ×4, first 2 shown]
	ds_store_2addr_b64 v93, v[102:103], v[202:203] offset0:16 offset1:141
	ds_store_2addr_b64 v97, v[198:199], v[116:117] offset0:48 offset1:173
	;; [unrolled: 1-line block ×7, first 2 shown]
	s_and_saveexec_b32 s2, vcc_lo
	s_cbranch_execz .LBB0_17
; %bb.16:
	s_wait_alu 0xfffe
	v_add_co_u32 v92, s0, s0, v172
	s_wait_alu 0xf1ff
	v_add_co_ci_u32_e64 v93, null, s1, 0, s0
	s_clause 0x4
	global_load_b64 v[94:95], v[92:93], off offset:3000
	global_load_b64 v[96:97], v[92:93], off offset:6200
	;; [unrolled: 1-line block ×5, first 2 shown]
	ds_load_b64 v[109:110], v172 offset:3000
	ds_load_b64 v[111:112], v172 offset:6200
	;; [unrolled: 1-line block ×5, first 2 shown]
	s_wait_loadcnt_dscnt 0x404
	v_mul_f32_e32 v99, v110, v95
	v_mul_f32_e32 v167, v109, v95
	s_wait_loadcnt_dscnt 0x303
	v_mul_f32_e32 v119, v112, v97
	s_wait_loadcnt_dscnt 0x101
	v_dual_mul_f32 v95, v111, v97 :: v_dual_mul_f32 v168, v116, v107
	v_mul_f32_e32 v159, v114, v103
	v_mul_f32_e32 v97, v113, v103
	;; [unrolled: 1-line block ×3, first 2 shown]
	s_wait_loadcnt_dscnt 0x0
	v_mul_f32_e32 v169, v118, v93
	v_mul_f32_e32 v107, v117, v93
	v_fma_f32 v166, v109, v94, -v99
	v_fmac_f32_e32 v167, v110, v94
	v_fma_f32 v94, v111, v96, -v119
	v_fmac_f32_e32 v95, v112, v96
	v_fma_f32 v96, v113, v102, -v159
	v_fmac_f32_e32 v97, v114, v102
	v_fma_f32 v102, v115, v106, -v168
	v_fmac_f32_e32 v103, v116, v106
	v_fma_f32 v106, v117, v92, -v169
	v_fmac_f32_e32 v107, v118, v92
	ds_store_b64 v172, v[166:167] offset:3000
	ds_store_b64 v172, v[94:95] offset:6200
	;; [unrolled: 1-line block ×5, first 2 shown]
.LBB0_17:
	s_wait_alu 0xfffe
	s_or_b32 exec_lo, exec_lo, s2
	global_wb scope:SCOPE_SE
	s_wait_dscnt 0x0
	s_barrier_signal -1
	s_barrier_wait -1
	global_inv scope:SCOPE_SE
	ds_load_2addr_b64 v[92:95], v172 offset1:125
	ds_load_2addr_b64 v[96:99], v98 offset0:58 offset1:208
	ds_load_2addr_b64 v[112:115], v101 offset0:32 offset1:157
	;; [unrolled: 1-line block ×6, first 2 shown]
	ds_load_b64 v[166:167], v172 offset:14800
	s_and_saveexec_b32 s0, vcc_lo
	s_cbranch_execz .LBB0_19
; %bb.18:
	ds_load_b64 v[164:165], v172 offset:3000
	ds_load_b64 v[160:161], v172 offset:6200
	ds_load_b64 v[162:163], v172 offset:9400
	ds_load_b64 v[157:158], v172 offset:12600
	ds_load_b64 v[155:156], v172 offset:15800
.LBB0_19:
	s_wait_alu 0xfffe
	s_or_b32 exec_lo, exec_lo, s0
	s_wait_dscnt 0x4
	v_dual_add_f32 v159, v112, v102 :: v_dual_sub_f32 v170, v113, v103
	s_wait_dscnt 0x3
	v_dual_add_f32 v168, v92, v98 :: v_dual_sub_f32 v169, v99, v117
	global_wb scope:SCOPE_SE
	s_wait_dscnt 0x0
	v_fma_f32 v186, -0.5, v159, v92
	v_sub_f32_e32 v171, v98, v112
	v_sub_f32_e32 v159, v116, v102
	s_barrier_signal -1
	s_barrier_wait -1
	v_fmamk_f32 v188, v169, 0xbf737871, v186
	v_fmac_f32_e32 v186, 0x3f737871, v169
	v_dual_add_f32 v168, v168, v112 :: v_dual_add_f32 v159, v171, v159
	s_delay_alu instid0(VALU_DEP_3) | instskip(NEXT) | instid1(VALU_DEP_2)
	v_dual_add_f32 v187, v98, v116 :: v_dual_fmac_f32 v188, 0xbf167918, v170
	v_dual_sub_f32 v171, v102, v116 :: v_dual_add_f32 v168, v168, v102
	v_sub_f32_e32 v102, v112, v102
	s_delay_alu instid0(VALU_DEP_3)
	v_fma_f32 v92, -0.5, v187, v92
	v_add_f32_e32 v187, v113, v103
	v_sub_f32_e32 v189, v112, v98
	v_add_f32_e32 v192, v168, v116
	v_sub_f32_e32 v116, v98, v116
	v_fmamk_f32 v190, v170, 0x3f737871, v92
	v_fma_f32 v187, -0.5, v187, v93
	v_add_f32_e32 v168, v93, v99
	v_dual_fmac_f32 v186, 0x3f167918, v170 :: v_dual_add_f32 v171, v189, v171
	s_delay_alu instid0(VALU_DEP_3) | instskip(NEXT) | instid1(VALU_DEP_3)
	v_dual_sub_f32 v112, v99, v113 :: v_dual_fmamk_f32 v189, v116, 0x3f737871, v187
	v_add_f32_e32 v168, v168, v113
	v_fmac_f32_e32 v188, 0x3e9e377a, v159
	v_fmac_f32_e32 v190, 0xbf167918, v169
	global_inv scope:SCOPE_SE
	v_dual_fmac_f32 v189, 0x3f167918, v102 :: v_dual_add_f32 v98, v168, v103
	v_sub_f32_e32 v168, v117, v103
	s_delay_alu instid0(VALU_DEP_2) | instskip(NEXT) | instid1(VALU_DEP_2)
	v_dual_fmac_f32 v92, 0xbf737871, v170 :: v_dual_add_f32 v193, v98, v117
	v_add_f32_e32 v112, v112, v168
	v_dual_fmac_f32 v186, 0x3e9e377a, v159 :: v_dual_add_f32 v159, v99, v117
	v_add_f32_e32 v168, v104, v118
	s_delay_alu instid0(VALU_DEP_2) | instskip(SKIP_4) | instid1(VALU_DEP_4)
	v_fma_f32 v93, -0.5, v159, v93
	v_dual_sub_f32 v98, v113, v99 :: v_dual_sub_f32 v99, v103, v117
	v_fmac_f32_e32 v187, 0xbf737871, v116
	v_dual_add_f32 v103, v114, v108 :: v_dual_fmac_f32 v190, 0x3e9e377a, v171
	v_add_f32_e32 v113, v94, v104
	v_add_f32_e32 v99, v98, v99
	v_fmamk_f32 v191, v102, 0xbf737871, v93
	v_fmac_f32_e32 v92, 0x3f167918, v169
	v_fmac_f32_e32 v187, 0xbf167918, v102
	v_fma_f32 v98, -0.5, v103, v94
	v_sub_f32_e32 v103, v105, v119
	v_fmac_f32_e32 v191, 0x3f167918, v116
	s_delay_alu instid0(VALU_DEP_4) | instskip(SKIP_2) | instid1(VALU_DEP_4)
	v_dual_fmac_f32 v92, 0x3e9e377a, v171 :: v_dual_fmac_f32 v187, 0x3e9e377a, v112
	v_fmac_f32_e32 v189, 0x3e9e377a, v112
	v_fmac_f32_e32 v93, 0x3f737871, v102
	v_dual_fmac_f32 v191, 0x3e9e377a, v99 :: v_dual_add_f32 v112, v113, v114
	v_dual_fmamk_f32 v102, v103, 0xbf737871, v98 :: v_dual_sub_f32 v117, v104, v114
	v_sub_f32_e32 v113, v115, v109
	v_sub_f32_e32 v159, v118, v108
	v_fma_f32 v94, -0.5, v168, v94
	v_fmac_f32_e32 v98, 0x3f737871, v103
	s_delay_alu instid0(VALU_DEP_4) | instskip(NEXT) | instid1(VALU_DEP_4)
	v_fmac_f32_e32 v102, 0xbf167918, v113
	v_dual_add_f32 v112, v112, v108 :: v_dual_add_f32 v117, v117, v159
	v_fmac_f32_e32 v93, 0xbf167918, v116
	v_dual_fmamk_f32 v116, v113, 0x3f737871, v94 :: v_dual_sub_f32 v159, v108, v118
	s_delay_alu instid0(VALU_DEP_3) | instskip(NEXT) | instid1(VALU_DEP_3)
	v_dual_add_f32 v112, v112, v118 :: v_dual_add_f32 v169, v115, v109
	v_dual_fmac_f32 v93, 0x3e9e377a, v99 :: v_dual_fmac_f32 v102, 0x3e9e377a, v117
	v_dual_sub_f32 v99, v114, v104 :: v_dual_fmac_f32 v98, 0x3f167918, v113
	s_delay_alu instid0(VALU_DEP_4) | instskip(NEXT) | instid1(VALU_DEP_2)
	v_fmac_f32_e32 v116, 0xbf167918, v103
	v_dual_sub_f32 v118, v104, v118 :: v_dual_add_f32 v159, v99, v159
	v_fma_f32 v99, -0.5, v169, v95
	v_add_f32_e32 v168, v95, v105
	v_fmac_f32_e32 v94, 0xbf737871, v113
	v_sub_f32_e32 v108, v114, v108
	v_fmac_f32_e32 v116, 0x3e9e377a, v159
	v_add_f32_e32 v169, v101, v111
	s_delay_alu instid0(VALU_DEP_4) | instskip(SKIP_2) | instid1(VALU_DEP_1)
	v_fmac_f32_e32 v94, 0x3f167918, v103
	v_fmamk_f32 v103, v118, 0x3f737871, v99
	v_dual_add_f32 v113, v168, v115 :: v_dual_add_f32 v168, v106, v166
	v_add_f32_e32 v104, v113, v109
	v_add_f32_e32 v113, v105, v119
	v_fmac_f32_e32 v99, 0xbf737871, v118
	v_fmac_f32_e32 v103, 0x3f167918, v108
	;; [unrolled: 1-line block ×3, first 2 shown]
	v_sub_f32_e32 v117, v119, v109
	v_fmac_f32_e32 v95, -0.5, v113
	v_add_f32_e32 v113, v104, v119
	v_sub_f32_e32 v114, v105, v115
	v_dual_sub_f32 v104, v115, v105 :: v_dual_sub_f32 v105, v109, v119
	v_add_f32_e32 v109, v100, v110
	s_delay_alu instid0(VALU_DEP_3) | instskip(NEXT) | instid1(VALU_DEP_3)
	v_dual_fmac_f32 v99, 0xbf167918, v108 :: v_dual_add_f32 v114, v114, v117
	v_dual_fmac_f32 v94, 0x3e9e377a, v159 :: v_dual_add_f32 v105, v104, v105
	s_delay_alu instid0(VALU_DEP_3)
	v_fma_f32 v104, -0.5, v109, v96
	v_sub_f32_e32 v109, v107, v167
	v_fmamk_f32 v117, v108, 0xbf737871, v95
	v_add_f32_e32 v115, v96, v106
	v_fma_f32 v96, -0.5, v168, v96
	v_fmac_f32_e32 v95, 0x3f737871, v108
	v_dual_fmamk_f32 v108, v109, 0xbf737871, v104 :: v_dual_sub_f32 v119, v106, v100
	v_dual_fmac_f32 v104, 0x3f737871, v109 :: v_dual_sub_f32 v159, v166, v110
	v_fmac_f32_e32 v103, 0x3e9e377a, v114
	v_fmac_f32_e32 v117, 0x3f167918, v118
	v_dual_fmac_f32 v95, 0xbf167918, v118 :: v_dual_add_f32 v168, v97, v107
	s_delay_alu instid0(VALU_DEP_4) | instskip(SKIP_1) | instid1(VALU_DEP_1)
	v_add_f32_e32 v119, v119, v159
	v_dual_fmac_f32 v99, 0x3e9e377a, v114 :: v_dual_add_f32 v114, v115, v100
	v_dual_add_f32 v114, v114, v110 :: v_dual_sub_f32 v115, v101, v111
	s_delay_alu instid0(VALU_DEP_1) | instskip(NEXT) | instid1(VALU_DEP_2)
	v_dual_fmac_f32 v117, 0x3e9e377a, v105 :: v_dual_add_f32 v114, v114, v166
	v_fmamk_f32 v118, v115, 0x3f737871, v96
	s_delay_alu instid0(VALU_DEP_1)
	v_fmac_f32_e32 v118, 0xbf167918, v109
	v_fmac_f32_e32 v108, 0xbf167918, v115
	;; [unrolled: 1-line block ×4, first 2 shown]
	v_dual_sub_f32 v105, v100, v106 :: v_dual_fmac_f32 v96, 0xbf737871, v115
	v_sub_f32_e32 v159, v110, v166
	v_sub_f32_e32 v106, v106, v166
	v_fmac_f32_e32 v108, 0x3e9e377a, v119
	v_fmac_f32_e32 v104, 0x3e9e377a, v119
	s_delay_alu instid0(VALU_DEP_4) | instskip(SKIP_3) | instid1(VALU_DEP_4)
	v_dual_fmac_f32 v96, 0x3f167918, v109 :: v_dual_add_f32 v159, v105, v159
	v_dual_add_f32 v119, v107, v167 :: v_dual_sub_f32 v100, v100, v110
	v_fma_f32 v105, -0.5, v169, v97
	v_sub_f32_e32 v110, v107, v101
	v_dual_add_f32 v115, v168, v101 :: v_dual_fmac_f32 v118, 0x3e9e377a, v159
	v_sub_f32_e32 v101, v101, v107
	v_sub_f32_e32 v107, v111, v167
	v_dual_fmamk_f32 v109, v106, 0x3f737871, v105 :: v_dual_sub_f32 v166, v167, v111
	s_delay_alu instid0(VALU_DEP_4) | instskip(SKIP_1) | instid1(VALU_DEP_4)
	v_add_f32_e32 v115, v115, v111
	v_fmac_f32_e32 v97, -0.5, v119
	v_add_f32_e32 v101, v101, v107
	v_sub_f32_e32 v107, v161, v156
	v_add_f32_e32 v111, v162, v157
	v_dual_add_f32 v110, v110, v166 :: v_dual_fmac_f32 v109, 0x3f167918, v100
	v_add_f32_e32 v115, v115, v167
	s_delay_alu instid0(VALU_DEP_3)
	v_fma_f32 v166, -0.5, v111, v164
	v_fmac_f32_e32 v105, 0xbf737871, v106
	v_sub_f32_e32 v111, v155, v157
	v_fmamk_f32 v119, v100, 0xbf737871, v97
	v_fmac_f32_e32 v97, 0x3f737871, v100
	v_fmamk_f32 v168, v107, 0xbf737871, v166
	s_delay_alu instid0(VALU_DEP_3) | instskip(NEXT) | instid1(VALU_DEP_3)
	v_fmac_f32_e32 v119, 0x3f167918, v106
	v_fmac_f32_e32 v97, 0xbf167918, v106
	v_sub_f32_e32 v106, v163, v158
	v_dual_fmac_f32 v96, 0x3e9e377a, v159 :: v_dual_fmac_f32 v109, 0x3e9e377a, v110
	v_add_f32_e32 v159, v160, v155
	v_fmac_f32_e32 v105, 0xbf167918, v100
	v_add_f32_e32 v100, v164, v160
	v_fmac_f32_e32 v168, 0xbf167918, v106
	s_delay_alu instid0(VALU_DEP_3) | instskip(SKIP_1) | instid1(VALU_DEP_4)
	v_dual_fmac_f32 v164, -0.5, v159 :: v_dual_fmac_f32 v105, 0x3e9e377a, v110
	v_sub_f32_e32 v110, v160, v162
	v_add_f32_e32 v100, v100, v162
	s_delay_alu instid0(VALU_DEP_3) | instskip(SKIP_1) | instid1(VALU_DEP_4)
	v_fmamk_f32 v170, v106, 0x3f737871, v164
	v_fmac_f32_e32 v164, 0xbf737871, v106
	v_add_f32_e32 v110, v110, v111
	s_delay_alu instid0(VALU_DEP_4) | instskip(NEXT) | instid1(VALU_DEP_2)
	v_add_f32_e32 v100, v100, v157
	v_dual_sub_f32 v111, v163, v161 :: v_dual_fmac_f32 v168, 0x3e9e377a, v110
	v_fmac_f32_e32 v166, 0x3f737871, v107
	s_delay_alu instid0(VALU_DEP_3) | instskip(SKIP_2) | instid1(VALU_DEP_4)
	v_dual_add_f32 v159, v100, v155 :: v_dual_add_f32 v100, v163, v158
	v_fmac_f32_e32 v170, 0xbf167918, v107
	v_fmac_f32_e32 v164, 0x3f167918, v107
	;; [unrolled: 1-line block ×3, first 2 shown]
	v_add_f32_e32 v106, v165, v161
	v_fma_f32 v167, -0.5, v100, v165
	v_dual_sub_f32 v100, v160, v155 :: v_dual_fmac_f32 v97, 0x3e9e377a, v101
	s_delay_alu instid0(VALU_DEP_4) | instskip(NEXT) | instid1(VALU_DEP_4)
	v_fmac_f32_e32 v166, 0x3e9e377a, v110
	v_add_f32_e32 v106, v106, v163
	v_dual_sub_f32 v110, v157, v155 :: v_dual_fmac_f32 v119, 0x3e9e377a, v101
	v_sub_f32_e32 v101, v162, v160
	v_fmamk_f32 v169, v100, 0x3f737871, v167
	v_fmac_f32_e32 v167, 0xbf737871, v100
	v_sub_f32_e32 v155, v158, v156
	ds_store_2addr_b64 v180, v[192:193], v[188:189] offset1:1
	ds_store_2addr_b64 v180, v[190:191], v[92:93] offset0:2 offset1:3
	ds_store_b64 v180, v[186:187] offset:32
	ds_store_2addr_b64 v179, v[112:113], v[102:103] offset1:1
	ds_store_2addr_b64 v179, v[116:117], v[94:95] offset0:2 offset1:3
	ds_store_b64 v179, v[98:99] offset:32
	;; [unrolled: 3-line block ×3, first 2 shown]
	v_add_f32_e32 v101, v101, v110
	v_dual_add_f32 v107, v161, v156 :: v_dual_sub_f32 v110, v162, v157
	s_delay_alu instid0(VALU_DEP_2) | instskip(SKIP_1) | instid1(VALU_DEP_3)
	v_fmac_f32_e32 v170, 0x3e9e377a, v101
	v_dual_fmac_f32 v164, 0x3e9e377a, v101 :: v_dual_add_f32 v101, v106, v158
	v_fmac_f32_e32 v165, -0.5, v107
	v_dual_sub_f32 v106, v161, v163 :: v_dual_sub_f32 v107, v156, v158
	s_delay_alu instid0(VALU_DEP_3) | instskip(NEXT) | instid1(VALU_DEP_3)
	v_dual_fmac_f32 v169, 0x3f167918, v110 :: v_dual_add_f32 v160, v101, v156
	v_fmamk_f32 v171, v110, 0xbf737871, v165
	s_delay_alu instid0(VALU_DEP_3) | instskip(SKIP_2) | instid1(VALU_DEP_4)
	v_dual_fmac_f32 v165, 0x3f737871, v110 :: v_dual_add_f32 v106, v106, v107
	v_fmac_f32_e32 v167, 0xbf167918, v110
	v_add_f32_e32 v107, v111, v155
	v_fmac_f32_e32 v171, 0x3f167918, v100
	s_delay_alu instid0(VALU_DEP_4) | instskip(SKIP_2) | instid1(VALU_DEP_4)
	v_fmac_f32_e32 v165, 0xbf167918, v100
	v_fmac_f32_e32 v169, 0x3e9e377a, v106
	v_fmac_f32_e32 v167, 0x3e9e377a, v106
	v_fmac_f32_e32 v171, 0x3e9e377a, v107
	s_delay_alu instid0(VALU_DEP_4)
	v_fmac_f32_e32 v165, 0x3e9e377a, v107
	s_and_saveexec_b32 s0, vcc_lo
	s_cbranch_execz .LBB0_21
; %bb.20:
	v_lshlrev_b32_e32 v92, 3, v181
	ds_store_2addr_b64 v92, v[159:160], v[168:169] offset1:1
	ds_store_2addr_b64 v92, v[170:171], v[164:165] offset0:2 offset1:3
	ds_store_b64 v92, v[166:167] offset:32
.LBB0_21:
	s_wait_alu 0xfffe
	s_or_b32 exec_lo, exec_lo, s0
	v_add_nc_u32_e32 v100, 0x1800, v172
	v_add_nc_u32_e32 v92, 0x600, v172
	;; [unrolled: 1-line block ×6, first 2 shown]
	global_wb scope:SCOPE_SE
	s_wait_dscnt 0x0
	s_barrier_signal -1
	s_barrier_wait -1
	global_inv scope:SCOPE_SE
	ds_load_2addr_b64 v[96:99], v172 offset1:125
	ds_load_2addr_b64 v[92:95], v92 offset0:58 offset1:208
	ds_load_2addr_b64 v[116:119], v100 offset0:32 offset1:157
	;; [unrolled: 1-line block ×6, first 2 shown]
	ds_load_b64 v[155:156], v172 offset:14800
	s_and_saveexec_b32 s0, vcc_lo
	s_cbranch_execz .LBB0_23
; %bb.22:
	ds_load_b64 v[159:160], v172 offset:3000
	ds_load_b64 v[168:169], v172 offset:6200
	;; [unrolled: 1-line block ×5, first 2 shown]
.LBB0_23:
	s_wait_alu 0xfffe
	s_or_b32 exec_lo, exec_lo, s0
	s_wait_dscnt 0x5
	v_dual_mul_f32 v157, v37, v95 :: v_dual_mul_f32 v158, v39, v117
	v_mul_f32_e32 v37, v37, v94
	global_wb scope:SCOPE_SE
	s_wait_dscnt 0x0
	s_barrier_signal -1
	v_dual_fmac_f32 v157, v36, v94 :: v_dual_mul_f32 v94, v35, v113
	v_fmac_f32_e32 v158, v38, v116
	v_fma_f32 v36, v36, v95, -v37
	v_mul_f32_e32 v37, v39, v116
	s_delay_alu instid0(VALU_DEP_4) | instskip(SKIP_3) | instid1(VALU_DEP_3)
	v_dual_mul_f32 v39, v33, v103 :: v_dual_fmac_f32 v94, v34, v112
	v_mul_f32_e32 v33, v33, v102
	v_mul_f32_e32 v35, v35, v112
	s_barrier_wait -1
	v_fmac_f32_e32 v39, v32, v102
	global_inv scope:SCOPE_SE
	v_fma_f32 v32, v32, v103, -v33
	v_fma_f32 v33, v34, v113, -v35
	v_mul_f32_e32 v34, v29, v109
	v_fma_f32 v37, v38, v117, -v37
	v_dual_mul_f32 v38, v25, v105 :: v_dual_mul_f32 v35, v31, v119
	v_mul_f32_e32 v29, v29, v108
	s_delay_alu instid0(VALU_DEP_4) | instskip(SKIP_1) | instid1(VALU_DEP_4)
	v_fmac_f32_e32 v34, v28, v108
	v_mul_f32_e32 v108, v19, v156
	v_dual_fmac_f32 v38, v24, v104 :: v_dual_fmac_f32 v35, v30, v118
	v_dual_mul_f32 v25, v25, v104 :: v_dual_mul_f32 v104, v23, v101
	s_delay_alu instid0(VALU_DEP_3) | instskip(SKIP_1) | instid1(VALU_DEP_3)
	v_dual_fmac_f32 v108, v18, v155 :: v_dual_mul_f32 v31, v31, v118
	v_fma_f32 v28, v28, v109, -v29
	v_fma_f32 v95, v24, v105, -v25
	s_delay_alu instid0(VALU_DEP_4) | instskip(NEXT) | instid1(VALU_DEP_4)
	v_dual_fmac_f32 v104, v22, v100 :: v_dual_mul_f32 v105, v17, v107
	v_fma_f32 v29, v30, v119, -v31
	v_mul_f32_e32 v31, v21, v111
	v_dual_mul_f32 v21, v21, v110 :: v_dual_mul_f32 v30, v27, v115
	v_mul_f32_e32 v17, v17, v106
	v_fmac_f32_e32 v105, v16, v106
	s_delay_alu instid0(VALU_DEP_4) | instskip(NEXT) | instid1(VALU_DEP_4)
	v_fmac_f32_e32 v31, v20, v110
	v_fma_f32 v103, v20, v111, -v21
	v_mul_f32_e32 v20, v23, v100
	v_dual_mul_f32 v112, v9, v165 :: v_dual_mul_f32 v27, v27, v114
	v_dual_mul_f32 v106, v13, v169 :: v_dual_mul_f32 v113, v11, v167
	s_delay_alu instid0(VALU_DEP_3)
	v_fma_f32 v100, v22, v101, -v20
	v_fma_f32 v101, v16, v107, -v17
	v_mul_f32_e32 v16, v19, v155
	v_mul_f32_e32 v107, v15, v171
	v_dual_mul_f32 v15, v15, v170 :: v_dual_fmac_f32 v112, v8, v164
	v_fmac_f32_e32 v106, v12, v168
	s_delay_alu instid0(VALU_DEP_4) | instskip(SKIP_1) | instid1(VALU_DEP_4)
	v_fma_f32 v109, v18, v156, -v16
	v_add_f32_e32 v18, v157, v94
	v_fma_f32 v111, v14, v171, -v15
	v_sub_f32_e32 v15, v36, v33
	v_mul_f32_e32 v13, v13, v168
	v_dual_sub_f32 v17, v37, v32 :: v_dual_sub_f32 v16, v94, v39
	v_dual_mul_f32 v11, v11, v166 :: v_dual_add_f32 v20, v97, v36
	s_delay_alu instid0(VALU_DEP_3) | instskip(SKIP_1) | instid1(VALU_DEP_3)
	v_fma_f32 v110, v12, v169, -v13
	v_dual_add_f32 v12, v158, v39 :: v_dual_mul_f32 v13, v9, v164
	v_fma_f32 v11, v10, v167, -v11
	v_fmac_f32_e32 v30, v26, v114
	v_fma_f32 v102, v26, v115, -v27
	s_delay_alu instid0(VALU_DEP_4) | instskip(SKIP_3) | instid1(VALU_DEP_4)
	v_fma_f32 v9, -0.5, v12, v96
	v_fma_f32 v8, v8, v165, -v13
	v_sub_f32_e32 v27, v29, v95
	v_dual_add_f32 v25, v35, v38 :: v_dual_sub_f32 v24, v32, v33
	v_fmamk_f32 v12, v15, 0xbf737871, v9
	v_dual_fmac_f32 v107, v14, v170 :: v_dual_add_f32 v14, v96, v157
	v_add_f32_e32 v26, v98, v34
	s_delay_alu instid0(VALU_DEP_2) | instskip(SKIP_1) | instid1(VALU_DEP_1)
	v_dual_fmac_f32 v12, 0xbf167918, v17 :: v_dual_add_f32 v13, v14, v158
	v_sub_f32_e32 v14, v157, v158
	v_add_f32_e32 v19, v14, v16
	v_fma_f32 v14, -0.5, v18, v96
	v_fmac_f32_e32 v113, v10, v166
	v_sub_f32_e32 v10, v158, v157
	s_delay_alu instid0(VALU_DEP_3) | instskip(SKIP_1) | instid1(VALU_DEP_2)
	v_fmamk_f32 v18, v17, 0x3f737871, v14
	v_dual_add_f32 v13, v13, v39 :: v_dual_fmac_f32 v14, 0xbf737871, v17
	v_fmac_f32_e32 v18, 0xbf167918, v15
	s_delay_alu instid0(VALU_DEP_2) | instskip(SKIP_4) | instid1(VALU_DEP_4)
	v_add_f32_e32 v16, v13, v94
	v_sub_f32_e32 v13, v39, v94
	v_fmac_f32_e32 v9, 0x3f737871, v15
	v_fmac_f32_e32 v12, 0x3e9e377a, v19
	v_dual_fmac_f32 v14, 0x3f167918, v15 :: v_dual_add_f32 v15, v36, v33
	v_add_f32_e32 v22, v10, v13
	s_delay_alu instid0(VALU_DEP_4) | instskip(SKIP_2) | instid1(VALU_DEP_3)
	v_fmac_f32_e32 v9, 0x3f167918, v17
	v_add_f32_e32 v21, v37, v32
	v_dual_add_f32 v13, v20, v37 :: v_dual_sub_f32 v20, v33, v32
	v_dual_fmac_f32 v18, 0x3e9e377a, v22 :: v_dual_fmac_f32 v9, 0x3e9e377a, v19
	v_fmac_f32_e32 v14, 0x3e9e377a, v22
	s_delay_alu instid0(VALU_DEP_4) | instskip(SKIP_4) | instid1(VALU_DEP_4)
	v_fma_f32 v10, -0.5, v21, v97
	v_sub_f32_e32 v19, v36, v37
	v_sub_f32_e32 v21, v157, v94
	;; [unrolled: 1-line block ×4, first 2 shown]
	v_add_f32_e32 v22, v19, v20
	v_add_f32_e32 v17, v13, v32
	v_fmamk_f32 v13, v21, 0x3f737871, v10
	v_fmac_f32_e32 v10, 0xbf737871, v21
	v_dual_sub_f32 v20, v37, v36 :: v_dual_sub_f32 v23, v158, v39
	v_fma_f32 v15, -0.5, v15, v97
	v_add_f32_e32 v17, v17, v33
	s_delay_alu instid0(VALU_DEP_3) | instskip(NEXT) | instid1(VALU_DEP_4)
	v_dual_add_f32 v33, v34, v30 :: v_dual_add_f32 v24, v20, v24
	v_dual_fmac_f32 v13, 0x3f167918, v23 :: v_dual_sub_f32 v32, v30, v38
	v_fmac_f32_e32 v10, 0xbf167918, v23
	v_fma_f32 v20, -0.5, v25, v98
	v_sub_f32_e32 v25, v28, v102
	v_fmamk_f32 v19, v23, 0xbf737871, v15
	v_fmac_f32_e32 v13, 0x3e9e377a, v22
	v_fmac_f32_e32 v10, 0x3e9e377a, v22
	;; [unrolled: 1-line block ×3, first 2 shown]
	v_fmamk_f32 v22, v25, 0xbf737871, v20
	v_fma_f32 v98, -0.5, v33, v98
	v_add_f32_e32 v23, v26, v35
	v_dual_sub_f32 v26, v34, v35 :: v_dual_fmac_f32 v19, 0x3f167918, v21
	v_dual_fmac_f32 v15, 0xbf167918, v21 :: v_dual_add_f32 v36, v29, v95
	s_delay_alu instid0(VALU_DEP_3) | instskip(NEXT) | instid1(VALU_DEP_3)
	v_add_f32_e32 v21, v23, v38
	v_add_f32_e32 v23, v26, v32
	v_sub_f32_e32 v32, v38, v30
	v_fmac_f32_e32 v22, 0xbf167918, v27
	v_fmamk_f32 v26, v27, 0x3f737871, v98
	v_fmac_f32_e32 v98, 0xbf737871, v27
	v_fmac_f32_e32 v19, 0x3e9e377a, v24
	v_sub_f32_e32 v97, v110, v11
	v_fmac_f32_e32 v22, 0x3e9e377a, v23
	v_dual_fmac_f32 v20, 0x3f737871, v25 :: v_dual_add_f32 v33, v99, v28
	v_fmac_f32_e32 v98, 0x3f167918, v25
	v_fmac_f32_e32 v26, 0xbf167918, v25
	s_delay_alu instid0(VALU_DEP_3)
	v_fmac_f32_e32 v20, 0x3f167918, v27
	v_dual_fmac_f32 v15, 0x3e9e377a, v24 :: v_dual_add_f32 v24, v21, v30
	v_sub_f32_e32 v21, v35, v34
	v_add_f32_e32 v27, v33, v29
	v_sub_f32_e32 v33, v34, v30
	v_sub_f32_e32 v30, v35, v38
	;; [unrolled: 1-line block ×3, first 2 shown]
	v_add_f32_e32 v32, v21, v32
	v_fma_f32 v21, -0.5, v36, v99
	v_add_f32_e32 v25, v27, v95
	v_add_f32_e32 v27, v28, v102
	v_dual_sub_f32 v35, v102, v95 :: v_dual_sub_f32 v28, v29, v28
	v_fmac_f32_e32 v20, 0x3e9e377a, v23
	v_fmac_f32_e32 v26, 0x3e9e377a, v32
	v_fmamk_f32 v23, v33, 0x3f737871, v21
	v_fmac_f32_e32 v98, 0x3e9e377a, v32
	v_add_f32_e32 v32, v34, v35
	v_dual_fmac_f32 v99, -0.5, v27 :: v_dual_add_f32 v34, v104, v105
	v_sub_f32_e32 v29, v95, v102
	v_dual_add_f32 v25, v25, v102 :: v_dual_sub_f32 v36, v103, v109
	s_delay_alu instid0(VALU_DEP_3) | instskip(NEXT) | instid1(VALU_DEP_3)
	v_dual_add_f32 v38, v31, v108 :: v_dual_fmamk_f32 v27, v30, 0xbf737871, v99
	v_add_f32_e32 v29, v28, v29
	v_fma_f32 v28, -0.5, v34, v92
	v_fmac_f32_e32 v21, 0xbf737871, v33
	v_add_f32_e32 v35, v92, v31
	v_dual_fmac_f32 v23, 0x3f167918, v30 :: v_dual_sub_f32 v34, v31, v104
	v_fma_f32 v92, -0.5, v38, v92
	s_delay_alu instid0(VALU_DEP_4)
	v_fmac_f32_e32 v21, 0xbf167918, v30
	v_fmac_f32_e32 v99, 0x3f737871, v30
	v_fmamk_f32 v30, v36, 0xbf737871, v28
	v_dual_fmac_f32 v28, 0x3f737871, v36 :: v_dual_sub_f32 v37, v108, v105
	v_fmac_f32_e32 v27, 0x3f167918, v33
	v_dual_fmac_f32 v21, 0x3e9e377a, v32 :: v_dual_add_f32 v38, v93, v103
	v_fmac_f32_e32 v99, 0xbf167918, v33
	s_delay_alu instid0(VALU_DEP_4) | instskip(SKIP_4) | instid1(VALU_DEP_3)
	v_add_f32_e32 v33, v34, v37
	v_fmac_f32_e32 v23, 0x3e9e377a, v32
	v_dual_add_f32 v32, v35, v104 :: v_dual_sub_f32 v35, v100, v101
	v_sub_f32_e32 v37, v105, v108
	v_dual_add_f32 v95, v107, v112 :: v_dual_sub_f32 v102, v106, v113
	v_add_f32_e32 v32, v32, v105
	s_delay_alu instid0(VALU_DEP_4) | instskip(NEXT) | instid1(VALU_DEP_2)
	v_fmamk_f32 v34, v35, 0x3f737871, v92
	v_add_f32_e32 v32, v32, v108
	s_delay_alu instid0(VALU_DEP_2)
	v_fmac_f32_e32 v34, 0xbf167918, v36
	v_fmac_f32_e32 v30, 0xbf167918, v35
	;; [unrolled: 1-line block ×6, first 2 shown]
	v_sub_f32_e32 v29, v104, v31
	v_add_f32_e32 v39, v100, v101
	v_fmac_f32_e32 v30, 0x3e9e377a, v33
	v_fmac_f32_e32 v28, 0x3e9e377a, v33
	;; [unrolled: 1-line block ×3, first 2 shown]
	v_sub_f32_e32 v36, v104, v105
	v_add_f32_e32 v37, v29, v37
	v_add_f32_e32 v35, v38, v100
	v_fma_f32 v29, -0.5, v39, v93
	v_sub_f32_e32 v38, v31, v108
	v_sub_f32_e32 v104, v111, v110
	s_delay_alu instid0(VALU_DEP_4) | instskip(SKIP_1) | instid1(VALU_DEP_4)
	v_add_f32_e32 v33, v35, v101
	v_add_f32_e32 v35, v103, v109
	v_fmamk_f32 v31, v38, 0x3f737871, v29
	v_fmac_f32_e32 v29, 0xbf737871, v38
	s_delay_alu instid0(VALU_DEP_3) | instskip(NEXT) | instid1(VALU_DEP_3)
	v_fmac_f32_e32 v93, -0.5, v35
	v_fmac_f32_e32 v31, 0x3f167918, v36
	s_delay_alu instid0(VALU_DEP_3) | instskip(NEXT) | instid1(VALU_DEP_3)
	v_fmac_f32_e32 v29, 0xbf167918, v36
	v_fmamk_f32 v35, v36, 0xbf737871, v93
	v_dual_fmac_f32 v93, 0x3f737871, v36 :: v_dual_add_f32 v36, v159, v106
	s_delay_alu instid0(VALU_DEP_1) | instskip(NEXT) | instid1(VALU_DEP_1)
	v_dual_fmac_f32 v93, 0xbf167918, v38 :: v_dual_add_f32 v36, v36, v107
	v_add_f32_e32 v36, v36, v112
	v_dual_sub_f32 v39, v103, v100 :: v_dual_fmac_f32 v92, 0x3e9e377a, v37
	v_fmac_f32_e32 v34, 0x3e9e377a, v37
	s_delay_alu instid0(VALU_DEP_2) | instskip(SKIP_4) | instid1(VALU_DEP_4)
	v_dual_add_f32 v36, v36, v113 :: v_dual_add_f32 v37, v39, v94
	v_dual_sub_f32 v39, v100, v103 :: v_dual_sub_f32 v94, v101, v109
	v_add_f32_e32 v100, v106, v113
	v_sub_f32_e32 v101, v112, v113
	v_sub_f32_e32 v103, v11, v8
	v_add_f32_e32 v39, v39, v94
	v_fma_f32 v94, -0.5, v95, v159
	v_dual_fmac_f32 v159, -0.5, v100 :: v_dual_sub_f32 v100, v107, v106
	v_fmac_f32_e32 v35, 0x3f167918, v38
	s_delay_alu instid0(VALU_DEP_3) | instskip(SKIP_1) | instid1(VALU_DEP_4)
	v_fmamk_f32 v38, v97, 0xbf737871, v94
	v_fmac_f32_e32 v94, 0x3f737871, v97
	v_dual_add_f32 v100, v100, v101 :: v_dual_sub_f32 v101, v107, v112
	v_sub_f32_e32 v95, v106, v107
	v_fmac_f32_e32 v29, 0x3e9e377a, v37
	s_delay_alu instid0(VALU_DEP_2) | instskip(SKIP_2) | instid1(VALU_DEP_1)
	v_add_f32_e32 v95, v95, v96
	v_fmac_f32_e32 v31, 0x3e9e377a, v37
	v_sub_f32_e32 v37, v111, v8
	v_fmamk_f32 v96, v37, 0x3f737871, v159
	v_fmac_f32_e32 v159, 0xbf737871, v37
	v_fmac_f32_e32 v35, 0x3e9e377a, v39
	;; [unrolled: 1-line block ×6, first 2 shown]
	v_add_f32_e32 v39, v111, v8
	s_delay_alu instid0(VALU_DEP_3) | instskip(SKIP_2) | instid1(VALU_DEP_3)
	v_dual_add_f32 v37, v160, v110 :: v_dual_fmac_f32 v96, 0x3e9e377a, v100
	v_fmac_f32_e32 v159, 0x3f167918, v97
	v_add_f32_e32 v97, v110, v11
	v_add_f32_e32 v37, v37, v111
	s_delay_alu instid0(VALU_DEP_3) | instskip(NEXT) | instid1(VALU_DEP_2)
	v_dual_fmac_f32 v159, 0x3e9e377a, v100 :: v_dual_sub_f32 v100, v110, v111
	v_dual_add_f32 v37, v37, v8 :: v_dual_sub_f32 v8, v8, v11
	s_delay_alu instid0(VALU_DEP_2)
	v_dual_add_f32 v100, v100, v103 :: v_dual_add_f32 v33, v33, v109
	v_fmac_f32_e32 v38, 0x3e9e377a, v95
	v_fmac_f32_e32 v94, 0x3e9e377a, v95
	v_fma_f32 v95, -0.5, v39, v160
	v_fmac_f32_e32 v160, -0.5, v97
	v_dual_add_f32 v8, v104, v8 :: v_dual_add_f32 v37, v37, v11
	ds_store_2addr_b64 v177, v[16:17], v[12:13] offset1:5
	ds_store_2addr_b64 v177, v[18:19], v[14:15] offset0:10 offset1:15
	ds_store_b64 v177, v[9:10] offset:160
	ds_store_2addr_b64 v176, v[24:25], v[22:23] offset1:5
	ds_store_2addr_b64 v176, v[26:27], v[98:99] offset0:10 offset1:15
	ds_store_b64 v176, v[20:21] offset:160
	;; [unrolled: 3-line block ×3, first 2 shown]
	v_fmamk_f32 v39, v102, 0x3f737871, v95
	v_fmac_f32_e32 v95, 0xbf737871, v102
	v_fmamk_f32 v97, v101, 0xbf737871, v160
	v_fmac_f32_e32 v160, 0x3f737871, v101
	s_delay_alu instid0(VALU_DEP_4) | instskip(NEXT) | instid1(VALU_DEP_4)
	v_fmac_f32_e32 v39, 0x3f167918, v101
	v_fmac_f32_e32 v95, 0xbf167918, v101
	s_delay_alu instid0(VALU_DEP_4) | instskip(NEXT) | instid1(VALU_DEP_4)
	v_fmac_f32_e32 v97, 0x3f167918, v102
	;; [unrolled: 3-line block ×4, first 2 shown]
	v_fmac_f32_e32 v160, 0x3e9e377a, v8
	s_and_saveexec_b32 s0, vcc_lo
	s_cbranch_execz .LBB0_25
; %bb.24:
	v_and_b32_e32 v8, 0xffff, v174
	s_delay_alu instid0(VALU_DEP_1)
	v_lshlrev_b32_e32 v8, 3, v8
	ds_store_2addr_b64 v8, v[36:37], v[38:39] offset1:5
	ds_store_2addr_b64 v8, v[96:97], v[159:160] offset0:10 offset1:15
	ds_store_b64 v8, v[94:95] offset:160
.LBB0_25:
	s_wait_alu 0xfffe
	s_or_b32 exec_lo, exec_lo, s0
	v_add_nc_u32_e32 v16, 0x1800, v172
	v_add_nc_u32_e32 v8, 0x600, v172
	;; [unrolled: 1-line block ×6, first 2 shown]
	global_wb scope:SCOPE_SE
	s_wait_dscnt 0x0
	s_barrier_signal -1
	s_barrier_wait -1
	global_inv scope:SCOPE_SE
	ds_load_2addr_b64 v[12:15], v172 offset1:125
	ds_load_2addr_b64 v[8:11], v8 offset0:58 offset1:208
	ds_load_2addr_b64 v[32:35], v16 offset0:32 offset1:157
	;; [unrolled: 1-line block ×6, first 2 shown]
	ds_load_b64 v[92:93], v172 offset:14800
	s_and_saveexec_b32 s0, vcc_lo
	s_cbranch_execz .LBB0_27
; %bb.26:
	ds_load_b64 v[36:37], v172 offset:3000
	ds_load_b64 v[38:39], v172 offset:6200
	;; [unrolled: 1-line block ×5, first 2 shown]
.LBB0_27:
	s_wait_alu 0xfffe
	s_or_b32 exec_lo, exec_lo, s0
	s_wait_dscnt 0x5
	v_dual_mul_f32 v98, v57, v11 :: v_dual_mul_f32 v99, v59, v33
	v_mul_f32_e32 v57, v57, v10
	s_wait_dscnt 0x4
	v_dual_mul_f32 v59, v59, v32 :: v_dual_mul_f32 v100, v49, v23
	s_delay_alu instid0(VALU_DEP_3)
	v_dual_fmac_f32 v98, v56, v10 :: v_dual_fmac_f32 v99, v58, v32
	global_wb scope:SCOPE_SE
	s_wait_dscnt 0x0
	v_fma_f32 v32, v58, v33, -v59
	v_dual_fmac_f32 v100, v48, v22 :: v_dual_mul_f32 v33, v45, v25
	v_mul_f32_e32 v10, v49, v22
	v_mul_f32_e32 v22, v51, v29
	v_fma_f32 v56, v56, v11, -v57
	v_mul_f32_e32 v11, v51, v28
	v_mul_f32_e32 v45, v45, v24
	s_barrier_signal -1
	v_fmac_f32_e32 v22, v50, v28
	v_fmac_f32_e32 v33, v44, v24
	v_fma_f32 v23, v48, v23, -v10
	v_mul_f32_e32 v10, v47, v34
	v_fma_f32 v28, v50, v29, -v11
	v_mul_f32_e32 v29, v47, v35
	;; [unrolled: 2-line block ×3, first 2 shown]
	v_dual_mul_f32 v11, v41, v16 :: v_dual_mul_f32 v48, v55, v93
	v_mul_f32_e32 v25, v43, v31
	v_fmac_f32_e32 v29, v46, v34
	v_fma_f32 v34, v46, v35, -v10
	v_mul_f32_e32 v10, v43, v30
	v_fmac_f32_e32 v48, v54, v92
	v_fmac_f32_e32 v25, v42, v30
	v_fma_f32 v35, v40, v17, -v11
	v_mul_f32_e32 v11, v61, v26
	v_fma_f32 v30, v42, v31, -v10
	v_add_f32_e32 v10, v99, v100
	v_sub_f32_e32 v17, v56, v28
	v_mul_f32_e32 v47, v53, v19
	v_fma_f32 v42, v60, v27, -v11
	v_mul_f32_e32 v41, v61, v27
	v_fma_f32 v10, -0.5, v10, v12
	v_fmac_f32_e32 v45, v40, v16
	v_dual_mul_f32 v16, v63, v20 :: v_dual_mul_f32 v11, v53, v18
	v_mul_f32_e32 v24, v55, v92
	s_barrier_wait -1
	global_inv scope:SCOPE_SE
	v_fma_f32 v46, v62, v21, -v16
	v_add_f32_e32 v16, v12, v98
	v_fma_f32 v49, v52, v19, -v11
	v_sub_f32_e32 v19, v32, v23
	v_fma_f32 v50, v54, v93, -v24
	s_delay_alu instid0(VALU_DEP_4) | instskip(SKIP_3) | instid1(VALU_DEP_3)
	v_dual_add_f32 v24, v13, v56 :: v_dual_add_f32 v11, v16, v99
	v_dual_fmamk_f32 v16, v17, 0xbf737871, v10 :: v_dual_mul_f32 v43, v63, v21
	v_add_f32_e32 v21, v98, v22
	v_dual_sub_f32 v31, v28, v23 :: v_dual_sub_f32 v40, v25, v45
	v_fmac_f32_e32 v16, 0xbf167918, v19
	s_delay_alu instid0(VALU_DEP_3)
	v_fma_f32 v12, -0.5, v21, v12
	v_dual_fmac_f32 v47, v52, v18 :: v_dual_sub_f32 v18, v98, v99
	v_add_f32_e32 v11, v11, v100
	v_fmac_f32_e32 v43, v62, v20
	v_dual_sub_f32 v20, v22, v100 :: v_dual_fmac_f32 v41, v60, v26
	v_add_f32_e32 v52, v34, v35
	s_delay_alu instid0(VALU_DEP_2) | instskip(SKIP_1) | instid1(VALU_DEP_2)
	v_add_f32_e32 v26, v18, v20
	v_fmamk_f32 v20, v19, 0x3f737871, v12
	v_fmac_f32_e32 v16, 0x3e9e377a, v26
	v_fmac_f32_e32 v10, 0x3f737871, v17
	s_delay_alu instid0(VALU_DEP_3) | instskip(SKIP_4) | instid1(VALU_DEP_4)
	v_fmac_f32_e32 v20, 0xbf167918, v17
	v_fmac_f32_e32 v12, 0xbf737871, v19
	v_add_f32_e32 v18, v11, v22
	v_sub_f32_e32 v11, v99, v98
	v_dual_sub_f32 v21, v100, v22 :: v_dual_fmac_f32 v10, 0x3f167918, v19
	v_dual_fmac_f32 v12, 0x3f167918, v17 :: v_dual_add_f32 v27, v32, v23
	s_delay_alu instid0(VALU_DEP_2) | instskip(SKIP_1) | instid1(VALU_DEP_3)
	v_dual_add_f32 v21, v11, v21 :: v_dual_fmac_f32 v10, 0x3e9e377a, v26
	v_sub_f32_e32 v26, v56, v32
	v_fma_f32 v11, -0.5, v27, v13
	v_dual_sub_f32 v27, v98, v22 :: v_dual_add_f32 v22, v56, v28
	s_delay_alu instid0(VALU_DEP_4) | instskip(SKIP_2) | instid1(VALU_DEP_4)
	v_dual_add_f32 v19, v24, v32 :: v_dual_fmac_f32 v12, 0x3e9e377a, v21
	v_sub_f32_e32 v24, v99, v100
	v_fmac_f32_e32 v20, 0x3e9e377a, v21
	v_fma_f32 v13, -0.5, v22, v13
	s_delay_alu instid0(VALU_DEP_4)
	v_add_f32_e32 v19, v19, v23
	v_sub_f32_e32 v23, v23, v28
	v_sub_f32_e32 v22, v32, v56
	;; [unrolled: 1-line block ×3, first 2 shown]
	v_fmamk_f32 v21, v24, 0xbf737871, v13
	v_dual_add_f32 v19, v19, v28 :: v_dual_add_f32 v28, v29, v45
	v_dual_fmamk_f32 v17, v27, 0x3f737871, v11 :: v_dual_add_f32 v26, v26, v31
	v_fmac_f32_e32 v11, 0xbf737871, v27
	v_add_f32_e32 v31, v14, v33
	v_add_f32_e32 v23, v22, v23
	s_delay_alu instid0(VALU_DEP_4) | instskip(SKIP_2) | instid1(VALU_DEP_3)
	v_fmac_f32_e32 v17, 0x3f167918, v24
	v_fma_f32 v22, -0.5, v28, v14
	v_dual_fmac_f32 v11, 0xbf167918, v24 :: v_dual_sub_f32 v28, v33, v29
	v_fmac_f32_e32 v17, 0x3e9e377a, v26
	s_delay_alu instid0(VALU_DEP_2) | instskip(SKIP_2) | instid1(VALU_DEP_3)
	v_dual_fmac_f32 v11, 0x3e9e377a, v26 :: v_dual_add_f32 v26, v31, v29
	v_sub_f32_e32 v31, v34, v35
	v_add_f32_e32 v51, v33, v25
	v_dual_add_f32 v26, v26, v45 :: v_dual_fmac_f32 v21, 0x3f167918, v27
	s_delay_alu instid0(VALU_DEP_2) | instskip(SKIP_3) | instid1(VALU_DEP_3)
	v_fma_f32 v14, -0.5, v51, v14
	v_fmac_f32_e32 v13, 0x3f737871, v24
	v_fmamk_f32 v24, v32, 0xbf737871, v22
	v_fmac_f32_e32 v22, 0x3f737871, v32
	v_dual_add_f32 v26, v26, v25 :: v_dual_fmac_f32 v13, 0xbf167918, v27
	v_dual_add_f32 v27, v28, v40 :: v_dual_fmamk_f32 v28, v31, 0x3f737871, v14
	v_dual_sub_f32 v40, v45, v25 :: v_dual_fmac_f32 v21, 0x3e9e377a, v23
	s_delay_alu instid0(VALU_DEP_2) | instskip(SKIP_2) | instid1(VALU_DEP_2)
	v_fmac_f32_e32 v28, 0xbf167918, v32
	v_dual_add_f32 v51, v15, v44 :: v_dual_fmac_f32 v14, 0xbf737871, v31
	v_fmac_f32_e32 v24, 0xbf167918, v31
	v_dual_fmac_f32 v22, 0x3f167918, v31 :: v_dual_add_f32 v31, v51, v34
	s_delay_alu instid0(VALU_DEP_3) | instskip(SKIP_1) | instid1(VALU_DEP_4)
	v_fmac_f32_e32 v14, 0x3f167918, v32
	v_dual_sub_f32 v32, v29, v45 :: v_dual_fmac_f32 v13, 0x3e9e377a, v23
	v_dual_sub_f32 v23, v29, v33 :: v_dual_fmac_f32 v24, 0x3e9e377a, v27
	s_delay_alu instid0(VALU_DEP_4) | instskip(SKIP_1) | instid1(VALU_DEP_3)
	v_fmac_f32_e32 v22, 0x3e9e377a, v27
	v_add_f32_e32 v27, v31, v35
	v_dual_add_f32 v31, v44, v30 :: v_dual_add_f32 v40, v23, v40
	v_fma_f32 v23, -0.5, v52, v15
	v_sub_f32_e32 v33, v33, v25
	v_sub_f32_e32 v29, v44, v34
	s_delay_alu instid0(VALU_DEP_4) | instskip(SKIP_1) | instid1(VALU_DEP_4)
	v_dual_sub_f32 v45, v30, v35 :: v_dual_fmac_f32 v14, 0x3e9e377a, v40
	v_fmac_f32_e32 v28, 0x3e9e377a, v40
	v_dual_fmamk_f32 v25, v33, 0x3f737871, v23 :: v_dual_sub_f32 v34, v34, v44
	v_add_f32_e32 v27, v27, v30
	v_dual_sub_f32 v30, v35, v30 :: v_dual_fmac_f32 v15, -0.5, v31
	s_delay_alu instid0(VALU_DEP_3) | instskip(SKIP_2) | instid1(VALU_DEP_4)
	v_dual_fmac_f32 v25, 0x3f167918, v32 :: v_dual_sub_f32 v44, v48, v47
	v_add_f32_e32 v35, v43, v47
	v_dual_sub_f32 v40, v41, v43 :: v_dual_fmac_f32 v23, 0xbf737871, v33
	v_add_f32_e32 v34, v34, v30
	s_delay_alu instid0(VALU_DEP_3) | instskip(NEXT) | instid1(VALU_DEP_3)
	v_fma_f32 v30, -0.5, v35, v8
	v_dual_add_f32 v40, v40, v44 :: v_dual_sub_f32 v35, v42, v50
	v_add_f32_e32 v31, v29, v45
	v_fmamk_f32 v29, v32, 0xbf737871, v15
	v_fmac_f32_e32 v15, 0x3f737871, v32
	v_dual_add_f32 v45, v41, v48 :: v_dual_sub_f32 v44, v43, v41
	s_delay_alu instid0(VALU_DEP_4) | instskip(NEXT) | instid1(VALU_DEP_4)
	v_fmac_f32_e32 v25, 0x3e9e377a, v31
	v_fmac_f32_e32 v29, 0x3f167918, v33
	s_delay_alu instid0(VALU_DEP_4) | instskip(SKIP_4) | instid1(VALU_DEP_3)
	v_fmac_f32_e32 v15, 0xbf167918, v33
	v_sub_f32_e32 v33, v46, v49
	v_dual_fmac_f32 v23, 0xbf167918, v32 :: v_dual_add_f32 v32, v8, v41
	v_fma_f32 v8, -0.5, v45, v8
	v_sub_f32_e32 v45, v47, v48
	v_fmac_f32_e32 v23, 0x3e9e377a, v31
	s_delay_alu instid0(VALU_DEP_4) | instskip(SKIP_1) | instid1(VALU_DEP_2)
	v_dual_add_f32 v31, v32, v43 :: v_dual_fmamk_f32 v32, v35, 0xbf737871, v30
	v_fmac_f32_e32 v30, 0x3f737871, v35
	v_dual_sub_f32 v43, v43, v47 :: v_dual_fmac_f32 v32, 0xbf167918, v33
	s_delay_alu instid0(VALU_DEP_2) | instskip(NEXT) | instid1(VALU_DEP_2)
	v_fmac_f32_e32 v30, 0x3f167918, v33
	v_fmac_f32_e32 v32, 0x3e9e377a, v40
	s_delay_alu instid0(VALU_DEP_2) | instskip(SKIP_2) | instid1(VALU_DEP_2)
	v_fmac_f32_e32 v30, 0x3e9e377a, v40
	v_fmamk_f32 v40, v33, 0x3f737871, v8
	v_dual_fmac_f32 v8, 0xbf737871, v33 :: v_dual_add_f32 v33, v9, v42
	v_fmac_f32_e32 v40, 0xbf167918, v35
	s_delay_alu instid0(VALU_DEP_2) | instskip(SKIP_3) | instid1(VALU_DEP_3)
	v_fmac_f32_e32 v8, 0x3f167918, v35
	v_add_f32_e32 v31, v31, v47
	v_fmac_f32_e32 v29, 0x3e9e377a, v34
	v_fmac_f32_e32 v15, 0x3e9e377a, v34
	v_dual_add_f32 v35, v33, v46 :: v_dual_add_f32 v34, v31, v48
	v_dual_add_f32 v31, v46, v49 :: v_dual_sub_f32 v48, v41, v48
	v_dual_add_f32 v41, v44, v45 :: v_dual_add_f32 v44, v42, v50
	v_sub_f32_e32 v45, v50, v49
	s_delay_alu instid0(VALU_DEP_3) | instskip(SKIP_1) | instid1(VALU_DEP_4)
	v_fma_f32 v31, -0.5, v31, v9
	v_add_f32_e32 v35, v35, v49
	v_dual_fmac_f32 v9, -0.5, v44 :: v_dual_sub_f32 v44, v42, v46
	v_sub_f32_e32 v42, v46, v42
	v_fmac_f32_e32 v40, 0x3e9e377a, v41
	v_fmac_f32_e32 v8, 0x3e9e377a, v41
	s_delay_alu instid0(VALU_DEP_4) | instskip(SKIP_3) | instid1(VALU_DEP_3)
	v_dual_fmamk_f32 v41, v43, 0xbf737871, v9 :: v_dual_sub_f32 v46, v49, v50
	v_fmamk_f32 v33, v48, 0x3f737871, v31
	v_fmac_f32_e32 v31, 0xbf737871, v48
	v_dual_fmac_f32 v9, 0x3f737871, v43 :: v_dual_add_f32 v44, v44, v45
	v_dual_add_f32 v42, v42, v46 :: v_dual_fmac_f32 v33, 0x3f167918, v43
	s_delay_alu instid0(VALU_DEP_3) | instskip(SKIP_1) | instid1(VALU_DEP_4)
	v_fmac_f32_e32 v31, 0xbf167918, v43
	v_fmac_f32_e32 v41, 0x3f167918, v48
	v_fmac_f32_e32 v9, 0xbf167918, v48
	v_add_f32_e32 v35, v35, v50
	v_fmac_f32_e32 v33, 0x3e9e377a, v44
	v_fmac_f32_e32 v31, 0x3e9e377a, v44
	;; [unrolled: 1-line block ×4, first 2 shown]
	ds_store_2addr_b64 v185, v[18:19], v[16:17] offset1:25
	ds_store_2addr_b64 v185, v[20:21], v[12:13] offset0:50 offset1:75
	ds_store_b64 v185, v[10:11] offset:800
	ds_store_2addr_b64 v183, v[26:27], v[24:25] offset1:25
	ds_store_2addr_b64 v183, v[28:29], v[14:15] offset0:50 offset1:75
	ds_store_b64 v183, v[22:23] offset:800
	ds_store_2addr_b64 v184, v[34:35], v[32:33] offset1:25
	ds_store_2addr_b64 v184, v[40:41], v[8:9] offset0:50 offset1:75
	ds_store_b64 v184, v[30:31] offset:800
	s_and_saveexec_b32 s0, vcc_lo
	s_cbranch_execz .LBB0_29
; %bb.28:
	v_dual_mul_f32 v8, v5, v38 :: v_dual_mul_f32 v11, v7, v97
	v_dual_mul_f32 v9, v3, v94 :: v_dual_mul_f32 v12, v1, v160
	v_dual_mul_f32 v10, v7, v96 :: v_dual_mul_f32 v1, v1, v159
	s_delay_alu instid0(VALU_DEP_3) | instskip(NEXT) | instid1(VALU_DEP_3)
	v_fma_f32 v8, v4, v39, -v8
	v_fma_f32 v9, v2, v95, -v9
	s_delay_alu instid0(VALU_DEP_4) | instskip(NEXT) | instid1(VALU_DEP_4)
	v_dual_fmac_f32 v11, v6, v96 :: v_dual_fmac_f32 v12, v0, v159
	v_fma_f32 v10, v6, v97, -v10
	s_delay_alu instid0(VALU_DEP_3) | instskip(SKIP_2) | instid1(VALU_DEP_3)
	v_dual_mul_f32 v13, v5, v39 :: v_dual_add_f32 v6, v8, v9
	v_mul_f32_e32 v14, v3, v95
	v_fma_f32 v15, v0, v160, -v1
	v_dual_sub_f32 v0, v11, v12 :: v_dual_fmac_f32 v13, v4, v38
	s_delay_alu instid0(VALU_DEP_4) | instskip(SKIP_1) | instid1(VALU_DEP_4)
	v_fma_f32 v1, -0.5, v6, v37
	v_add_f32_e32 v17, v37, v8
	v_add_f32_e32 v5, v10, v15
	v_fmac_f32_e32 v14, v2, v94
	s_delay_alu instid0(VALU_DEP_4) | instskip(SKIP_1) | instid1(VALU_DEP_4)
	v_dual_sub_f32 v4, v15, v9 :: v_dual_fmamk_f32 v3, v0, 0x3f737871, v1
	v_fmac_f32_e32 v1, 0xbf737871, v0
	v_fma_f32 v5, -0.5, v5, v37
	s_delay_alu instid0(VALU_DEP_4) | instskip(NEXT) | instid1(VALU_DEP_1)
	v_sub_f32_e32 v6, v13, v14
	v_dual_sub_f32 v16, v9, v15 :: v_dual_fmamk_f32 v7, v6, 0xbf737871, v5
	s_delay_alu instid0(VALU_DEP_1) | instskip(SKIP_2) | instid1(VALU_DEP_2)
	v_fmac_f32_e32 v7, 0xbf167918, v0
	v_dual_sub_f32 v2, v10, v8 :: v_dual_fmac_f32 v3, 0xbf167918, v6
	v_fmac_f32_e32 v1, 0x3f167918, v6
	v_dual_fmac_f32 v5, 0x3f737871, v6 :: v_dual_add_f32 v2, v2, v4
	v_sub_f32_e32 v4, v8, v10
	s_delay_alu instid0(VALU_DEP_2) | instskip(NEXT) | instid1(VALU_DEP_2)
	v_dual_sub_f32 v8, v8, v9 :: v_dual_fmac_f32 v3, 0x3e9e377a, v2
	v_add_f32_e32 v4, v4, v16
	v_add_f32_e32 v6, v17, v10
	v_dual_fmac_f32 v1, 0x3e9e377a, v2 :: v_dual_sub_f32 v10, v10, v15
	v_add_f32_e32 v17, v11, v12
	s_delay_alu instid0(VALU_DEP_3) | instskip(SKIP_2) | instid1(VALU_DEP_2)
	v_dual_fmac_f32 v7, 0x3e9e377a, v4 :: v_dual_add_f32 v6, v6, v15
	v_dual_add_f32 v16, v13, v14 :: v_dual_fmac_f32 v5, 0x3f167918, v0
	v_sub_f32_e32 v15, v11, v13
	v_fma_f32 v0, -0.5, v16, v36
	s_delay_alu instid0(VALU_DEP_3) | instskip(SKIP_1) | instid1(VALU_DEP_2)
	v_dual_sub_f32 v16, v12, v14 :: v_dual_fmac_f32 v5, 0x3e9e377a, v4
	v_fma_f32 v4, -0.5, v17, v36
	v_dual_fmamk_f32 v2, v10, 0xbf737871, v0 :: v_dual_add_f32 v15, v15, v16
	v_add_f32_e32 v16, v36, v13
	v_add_f32_e32 v9, v6, v9
	s_delay_alu instid0(VALU_DEP_4) | instskip(NEXT) | instid1(VALU_DEP_4)
	v_dual_sub_f32 v13, v13, v11 :: v_dual_fmamk_f32 v6, v8, 0x3f737871, v4
	v_fmac_f32_e32 v2, 0x3f167918, v8
	v_sub_f32_e32 v17, v14, v12
	v_dual_fmac_f32 v4, 0xbf737871, v8 :: v_dual_add_f32 v11, v16, v11
	s_delay_alu instid0(VALU_DEP_4) | instskip(NEXT) | instid1(VALU_DEP_4)
	v_fmac_f32_e32 v6, 0x3f167918, v10
	v_fmac_f32_e32 v2, 0x3e9e377a, v15
	s_delay_alu instid0(VALU_DEP_4) | instskip(NEXT) | instid1(VALU_DEP_4)
	v_dual_fmac_f32 v0, 0x3f737871, v10 :: v_dual_add_f32 v13, v13, v17
	v_dual_fmac_f32 v4, 0xbf167918, v10 :: v_dual_add_f32 v11, v11, v12
	v_lshlrev_b32_e32 v12, 3, v182
	s_delay_alu instid0(VALU_DEP_3) | instskip(NEXT) | instid1(VALU_DEP_4)
	v_fmac_f32_e32 v0, 0xbf167918, v8
	v_fmac_f32_e32 v6, 0x3e9e377a, v13
	s_delay_alu instid0(VALU_DEP_4)
	v_fmac_f32_e32 v4, 0x3e9e377a, v13
	v_add_f32_e32 v8, v11, v14
	v_add_nc_u32_e32 v10, 0x3800, v12
	v_fmac_f32_e32 v0, 0x3e9e377a, v15
	ds_store_2addr_b64 v10, v[8:9], v[4:5] offset0:83 offset1:108
	ds_store_2addr_b64 v10, v[0:1], v[2:3] offset0:133 offset1:158
	ds_store_b64 v12, v[6:7] offset:15800
.LBB0_29:
	s_wait_alu 0xfffe
	s_or_b32 exec_lo, exec_lo, s0
	global_wb scope:SCOPE_SE
	s_wait_dscnt 0x0
	s_barrier_signal -1
	s_barrier_wait -1
	global_inv scope:SCOPE_SE
	ds_load_2addr_b64 v[0:3], v172 offset1:125
	v_add_nc_u32_e32 v32, 0x400, v172
	v_add_nc_u32_e32 v33, 0xc00, v172
	s_mov_b32 s2, 0xd2f1a9fc
	s_mov_b32 s3, 0x3f40624d
	s_wait_dscnt 0x0
	v_mul_f32_e32 v40, v89, v2
	v_mul_f32_e32 v39, v89, v3
	ds_load_2addr_b64 v[4:7], v32 offset0:122 offset1:247
	ds_load_2addr_b64 v[8:11], v33 offset0:116 offset1:241
	v_add_nc_u32_e32 v34, 0x1400, v172
	v_add_nc_u32_e32 v35, 0x1c00, v172
	v_dual_fmac_f32 v39, v88, v2 :: v_dual_add_nc_u32 v36, 0x2400, v172
	v_add_nc_u32_e32 v38, 0x3400, v172
	v_fma_f32 v2, v88, v3, -v40
	s_wait_dscnt 0x1
	v_dual_mul_f32 v42, v81, v6 :: v_dual_add_nc_u32 v37, 0x2c00, v172
	ds_load_2addr_b64 v[12:15], v34 offset0:110 offset1:235
	ds_load_2addr_b64 v[16:19], v35 offset0:104 offset1:229
	v_mul_f32_e32 v3, v91, v5
	v_dual_mul_f32 v41, v81, v7 :: v_dual_mul_f32 v40, v91, v4
	s_wait_dscnt 0x2
	v_mul_f32_e32 v43, v83, v9
	s_delay_alu instid0(VALU_DEP_3) | instskip(NEXT) | instid1(VALU_DEP_3)
	v_fmac_f32_e32 v3, v90, v4
	v_fmac_f32_e32 v41, v80, v6
	v_fma_f32 v4, v90, v5, -v40
	v_mul_f32_e32 v40, v73, v10
	ds_load_2addr_b64 v[20:23], v36 offset0:98 offset1:223
	ds_load_2addr_b64 v[24:27], v37 offset0:92 offset1:217
	;; [unrolled: 1-line block ×3, first 2 shown]
	v_mul_f32_e32 v5, v83, v8
	v_fma_f32 v6, v80, v7, -v42
	v_mul_f32_e32 v7, v73, v11
	v_fmac_f32_e32 v43, v82, v8
	s_wait_dscnt 0x4
	s_delay_alu instid0(VALU_DEP_2) | instskip(SKIP_1) | instid1(VALU_DEP_2)
	v_dual_fmac_f32 v7, v72, v10 :: v_dual_mul_f32 v8, v75, v13
	v_mul_f32_e32 v10, v75, v12
	v_fmac_f32_e32 v8, v74, v12
	v_mul_f32_e32 v12, v65, v14
	v_fma_f32 v5, v82, v9, -v5
	v_fma_f32 v9, v72, v11, -v40
	s_wait_dscnt 0x3
	v_dual_mul_f32 v11, v65, v15 :: v_dual_mul_f32 v40, v67, v17
	v_fma_f32 v10, v74, v13, -v10
	v_mul_f32_e32 v13, v67, v16
	v_fma_f32 v12, v64, v15, -v12
	s_delay_alu instid0(VALU_DEP_4) | instskip(SKIP_3) | instid1(VALU_DEP_2)
	v_fmac_f32_e32 v40, v66, v16
	s_wait_dscnt 0x2
	v_dual_mul_f32 v16, v87, v21 :: v_dual_fmac_f32 v11, v64, v14
	v_mul_f32_e32 v14, v85, v19
	v_dual_mul_f32 v15, v85, v18 :: v_dual_fmac_f32 v16, v86, v20
	s_delay_alu instid0(VALU_DEP_2) | instskip(SKIP_2) | instid1(VALU_DEP_4)
	v_fmac_f32_e32 v14, v84, v18
	v_fma_f32 v13, v66, v17, -v13
	v_dual_mul_f32 v17, v87, v20 :: v_dual_mul_f32 v18, v77, v23
	v_fma_f32 v15, v84, v19, -v15
	s_wait_dscnt 0x1
	v_dual_mul_f32 v19, v77, v22 :: v_dual_mul_f32 v20, v79, v25
	s_delay_alu instid0(VALU_DEP_3) | instskip(SKIP_2) | instid1(VALU_DEP_4)
	v_fma_f32 v17, v86, v21, -v17
	v_dual_fmac_f32 v18, v76, v22 :: v_dual_mul_f32 v21, v79, v24
	v_mul_f32_e32 v22, v69, v27
	v_fma_f32 v19, v76, v23, -v19
	v_dual_fmac_f32 v20, v78, v24 :: v_dual_mul_f32 v23, v69, v26
	s_delay_alu instid0(VALU_DEP_4)
	v_fma_f32 v21, v78, v25, -v21
	s_wait_dscnt 0x0
	v_mul_f32_e32 v24, v71, v29
	v_dual_mul_f32 v25, v71, v28 :: v_dual_fmac_f32 v22, v68, v26
	v_sub_f32_e32 v13, v1, v13
	v_fma_f32 v23, v68, v27, -v23
	v_dual_mul_f32 v26, v154, v31 :: v_dual_sub_f32 v21, v5, v21
	v_mul_f32_e32 v27, v154, v30
	v_dual_fmac_f32 v24, v70, v28 :: v_dual_sub_f32 v17, v4, v17
	v_fma_f32 v25, v70, v29, -v25
	v_sub_f32_e32 v28, v0, v40
	v_dual_fmac_f32 v26, v153, v30 :: v_dual_sub_f32 v15, v2, v15
	v_fma_f32 v27, v153, v31, -v27
	v_dual_sub_f32 v20, v43, v20 :: v_dual_sub_f32 v23, v9, v23
	v_dual_sub_f32 v16, v3, v16 :: v_dual_sub_f32 v19, v6, v19
	v_fma_f32 v1, v1, 2.0, -v13
	v_fma_f32 v5, v5, 2.0, -v21
	v_dual_sub_f32 v24, v8, v24 :: v_dual_sub_f32 v25, v10, v25
	v_fma_f32 v0, v0, 2.0, -v28
	v_fma_f32 v29, v43, 2.0, -v20
	s_delay_alu instid0(VALU_DEP_4)
	v_sub_f32_e32 v5, v1, v5
	v_fma_f32 v3, v3, 2.0, -v16
	v_fma_f32 v4, v4, 2.0, -v17
	v_dual_sub_f32 v14, v39, v14 :: v_dual_sub_f32 v27, v12, v27
	v_fma_f32 v8, v8, 2.0, -v24
	v_fma_f32 v10, v10, 2.0, -v25
	v_dual_sub_f32 v22, v7, v22 :: v_dual_sub_f32 v29, v0, v29
	v_dual_sub_f32 v18, v41, v18 :: v_dual_add_f32 v21, v28, v21
	v_dual_sub_f32 v26, v11, v26 :: v_dual_add_f32 v25, v16, v25
	v_fma_f32 v30, v39, 2.0, -v14
	v_fma_f32 v2, v2, 2.0, -v15
	;; [unrolled: 1-line block ×8, first 2 shown]
	v_dual_sub_f32 v20, v13, v20 :: v_dual_sub_f32 v7, v30, v7
	v_dual_sub_f32 v8, v3, v8 :: v_dual_sub_f32 v9, v2, v9
	v_fma_f32 v28, v28, 2.0, -v21
	v_dual_sub_f32 v10, v4, v10 :: v_dual_add_f32 v23, v14, v23
	v_dual_sub_f32 v24, v17, v24 :: v_dual_sub_f32 v11, v31, v11
	v_fma_f32 v16, v16, 2.0, -v25
	v_fma_f32 v0, v0, 2.0, -v29
	;; [unrolled: 1-line block ×7, first 2 shown]
	v_dual_sub_f32 v22, v15, v22 :: v_dual_add_f32 v27, v18, v27
	v_dual_sub_f32 v12, v6, v12 :: v_dual_fmamk_f32 v39, v16, 0xbf3504f3, v28
	s_delay_alu instid0(VALU_DEP_4) | instskip(SKIP_1) | instid1(VALU_DEP_4)
	v_dual_sub_f32 v26, v19, v26 :: v_dual_sub_f32 v41, v1, v4
	v_fma_f32 v14, v14, 2.0, -v23
	v_fma_f32 v15, v15, 2.0, -v22
	;; [unrolled: 1-line block ×3, first 2 shown]
	v_dual_sub_f32 v40, v0, v3 :: v_dual_fmac_f32 v39, 0x3f3504f3, v17
	v_fmamk_f32 v42, v17, 0xbf3504f3, v13
	v_fma_f32 v3, v19, 2.0, -v26
	v_dual_sub_f32 v44, v5, v8 :: v_dual_fmamk_f32 v45, v24, 0x3f3504f3, v20
	v_fma_f32 v30, v30, 2.0, -v7
	v_fma_f32 v2, v2, 2.0, -v9
	v_fma_f32 v31, v31, 2.0, -v11
	v_fma_f32 v6, v6, 2.0, -v12
	v_fma_f32 v17, v1, 2.0, -v41
	v_fmamk_f32 v43, v25, 0x3f3504f3, v21
	v_fmamk_f32 v46, v3, 0xbf3504f3, v15
	v_fmac_f32_e32 v45, 0xbf3504f3, v25
	v_fmamk_f32 v25, v18, 0xbf3504f3, v14
	v_fmac_f32_e32 v42, 0xbf3504f3, v16
	v_fma_f32 v16, v28, 2.0, -v39
	v_add_f32_e32 v28, v29, v10
	v_fma_f32 v4, v0, 2.0, -v40
	v_dual_add_f32 v47, v7, v12 :: v_dual_sub_f32 v48, v9, v11
	s_delay_alu instid0(VALU_DEP_3)
	v_fma_f32 v19, v29, 2.0, -v28
	v_sub_f32_e32 v29, v30, v31
	v_sub_f32_e32 v31, v2, v6
	v_fma_f32 v13, v13, 2.0, -v42
	v_fma_f32 v11, v7, 2.0, -v47
	v_fma_f32 v9, v9, 2.0, -v48
	v_fma_f32 v0, v30, 2.0, -v29
	v_fmamk_f32 v30, v27, 0x3f3504f3, v23
	v_fmac_f32_e32 v25, 0x3f3504f3, v3
	v_fma_f32 v1, v2, 2.0, -v31
	s_delay_alu instid0(VALU_DEP_4) | instskip(NEXT) | instid1(VALU_DEP_4)
	v_dual_fmamk_f32 v49, v26, 0x3f3504f3, v22 :: v_dual_sub_f32 v0, v4, v0
	v_fmac_f32_e32 v30, 0x3f3504f3, v26
	s_delay_alu instid0(VALU_DEP_4) | instskip(NEXT) | instid1(VALU_DEP_4)
	v_fma_f32 v8, v14, 2.0, -v25
	v_dual_sub_f32 v1, v17, v1 :: v_dual_fmac_f32 v46, 0xbf3504f3, v18
	v_fmac_f32_e32 v43, 0x3f3504f3, v24
	v_fma_f32 v24, v5, 2.0, -v44
	v_fma_f32 v14, v23, 2.0, -v30
	s_delay_alu instid0(VALU_DEP_4)
	v_fma_f32 v5, v17, 2.0, -v1
	v_fma_f32 v6, v15, 2.0, -v46
	v_fmamk_f32 v2, v8, 0xbf6c835e, v16
	v_fma_f32 v21, v21, 2.0, -v43
	v_sub_f32_e32 v17, v41, v29
	v_fma_f32 v20, v20, 2.0, -v45
	v_fmamk_f32 v3, v6, 0xbf6c835e, v13
	v_fmac_f32_e32 v2, 0x3ec3ef15, v6
	v_dual_fmamk_f32 v6, v11, 0xbf3504f3, v19 :: v_dual_fmamk_f32 v7, v9, 0xbf3504f3, v24
	v_fmamk_f32 v18, v25, 0x3ec3ef15, v39
	s_delay_alu instid0(VALU_DEP_4) | instskip(NEXT) | instid1(VALU_DEP_4)
	v_fmac_f32_e32 v3, 0xbec3ef15, v8
	v_fma_f32 v10, v16, 2.0, -v2
	v_add_f32_e32 v16, v40, v31
	v_fmac_f32_e32 v49, 0xbf3504f3, v27
	v_fmac_f32_e32 v6, 0x3f3504f3, v9
	;; [unrolled: 1-line block ×3, first 2 shown]
	v_fma_f32 v11, v13, 2.0, -v3
	v_fmamk_f32 v23, v48, 0x3f3504f3, v44
	v_fma_f32 v12, v22, 2.0, -v49
	v_fmamk_f32 v8, v14, 0xbec3ef15, v21
	;; [unrolled: 2-line block ×3, first 2 shown]
	v_fmamk_f32 v24, v30, 0x3f6c835e, v43
	v_fmamk_f32 v9, v12, 0xbec3ef15, v20
	v_fmac_f32_e32 v8, 0x3f6c835e, v12
	v_fma_f32 v12, v19, 2.0, -v6
	v_fmamk_f32 v19, v46, 0x3ec3ef15, v42
	v_fmac_f32_e32 v18, 0x3f6c835e, v46
	v_fmac_f32_e32 v9, 0xbf6c835e, v14
	v_fmac_f32_e32 v22, 0x3f3504f3, v48
	v_fmac_f32_e32 v23, 0xbf3504f3, v47
	v_fmac_f32_e32 v19, 0xbf6c835e, v25
	v_fmamk_f32 v25, v49, 0x3f6c835e, v45
	v_fmac_f32_e32 v24, 0x3ec3ef15, v49
	v_fma_f32 v4, v4, 2.0, -v0
	v_fma_f32 v14, v21, 2.0, -v8
	;; [unrolled: 1-line block ×3, first 2 shown]
	v_fmac_f32_e32 v25, 0xbec3ef15, v30
	v_fma_f32 v20, v40, 2.0, -v16
	v_fma_f32 v21, v41, 2.0, -v17
	;; [unrolled: 1-line block ×8, first 2 shown]
	ds_store_2addr_b64 v172, v[4:5], v[10:11] offset1:125
	ds_store_2addr_b64 v32, v[12:13], v[14:15] offset0:122 offset1:247
	ds_store_2addr_b64 v33, v[20:21], v[26:27] offset0:116 offset1:241
	;; [unrolled: 1-line block ×7, first 2 shown]
	global_wb scope:SCOPE_SE
	s_wait_dscnt 0x0
	s_barrier_signal -1
	s_barrier_wait -1
	global_inv scope:SCOPE_SE
	ds_load_2addr_b64 v[0:3], v172 offset1:125
	v_add_nc_u32_e32 v4, 0x600, v172
	v_add_nc_u32_e32 v8, 0x1800, v172
	;; [unrolled: 1-line block ×3, first 2 shown]
	v_mad_co_u64_u32 v[28:29], null, s6, v130, 0
	ds_load_2addr_b64 v[4:7], v4 offset0:58 offset1:208
	ds_load_2addr_b64 v[8:11], v8 offset0:32 offset1:157
	;; [unrolled: 1-line block ×3, first 2 shown]
	v_mad_co_u64_u32 v[30:31], null, s4, v173, 0
	s_delay_alu instid0(VALU_DEP_1) | instskip(SKIP_2) | instid1(VALU_DEP_1)
	v_mad_co_u64_u32 v[32:33], null, s7, v130, v[29:30]
	s_wait_dscnt 0x3
	v_mul_f32_e32 v16, v146, v1
	v_fmac_f32_e32 v16, v145, v0
	s_wait_dscnt 0x2
	v_mul_f32_e32 v18, v148, v7
	s_wait_dscnt 0x1
	v_dual_mul_f32 v19, v148, v6 :: v_dual_mul_f32 v22, v150, v8
	v_mul_f32_e32 v0, v146, v0
	v_cvt_f64_f32_e32 v[16:17], v16
	v_fmac_f32_e32 v18, v147, v6
	s_delay_alu instid0(VALU_DEP_4)
	v_fma_f32 v6, v147, v7, -v19
	v_mul_f32_e32 v7, v150, v9
	v_fma_f32 v0, v145, v1, -v0
	v_mul_f32_e32 v45, v123, v4
	v_cvt_f64_f32_e32 v[18:19], v18
	v_cvt_f64_f32_e32 v[20:21], v6
	s_wait_dscnt 0x0
	v_dual_mul_f32 v6, v152, v15 :: v_dual_fmac_f32 v7, v149, v8
	v_fma_f32 v8, v149, v9, -v22
	v_mul_f32_e32 v9, v152, v14
	v_cvt_f64_f32_e32 v[0:1], v0
	s_delay_alu instid0(VALU_DEP_4)
	v_fmac_f32_e32 v6, v151, v14
	v_cvt_f64_f32_e32 v[22:23], v7
	v_cvt_f64_f32_e32 v[24:25], v8
	v_fma_f32 v7, v151, v15, -v9
	v_mul_f32_e32 v48, v129, v13
	v_cvt_f64_f32_e32 v[14:15], v6
	v_add_nc_u32_e32 v6, 0x3000, v172
	v_mul_f32_e32 v44, v123, v5
	v_cvt_f64_f32_e32 v[26:27], v7
	v_fmac_f32_e32 v48, v128, v12
	v_mul_f32_e32 v12, v129, v12
	ds_load_2addr_b64 v[6:9], v6 offset0:64 offset1:189
	v_fmac_f32_e32 v44, v122, v4
	v_fma_f32 v45, v122, v5, -v45
	v_cvt_f64_f32_e32 v[48:49], v48
	v_fma_f32 v12, v128, v13, -v12
	s_delay_alu instid0(VALU_DEP_4) | instskip(NEXT) | instid1(VALU_DEP_2)
	v_cvt_f64_f32_e32 v[4:5], v44
	v_cvt_f64_f32_e32 v[12:13], v12
	s_wait_alu 0xfffe
	v_mul_f64_e32 v[16:17], s[2:3], v[16:17]
	s_wait_dscnt 0x0
	v_dual_mul_f32 v34, v144, v7 :: v_dual_mul_f32 v41, v138, v8
	v_mul_f32_e32 v35, v144, v6
	v_mul_f64_e32 v[18:19], s[2:3], v[18:19]
	v_mul_f64_e32 v[20:21], s[2:3], v[20:21]
	s_delay_alu instid0(VALU_DEP_4)
	v_fmac_f32_e32 v34, v143, v6
	v_mul_f64_e32 v[0:1], s[2:3], v[0:1]
	v_fma_f32 v29, v143, v7, -v35
	v_mul_f64_e32 v[22:23], s[2:3], v[22:23]
	v_mul_f64_e32 v[24:25], s[2:3], v[24:25]
	v_mul_f32_e32 v40, v138, v9
	v_fma_f32 v42, v137, v9, -v41
	v_mul_f64_e32 v[6:7], s[2:3], v[14:15]
	v_mov_b32_e32 v14, v31
	v_cvt_f64_f32_e32 v[35:36], v29
	v_mov_b32_e32 v29, v32
	v_mul_f64_e32 v[26:27], s[2:3], v[26:27]
	v_fmac_f32_e32 v40, v137, v8
	v_mad_co_u64_u32 v[14:15], null, s5, v173, v[14:15]
	v_cvt_f64_f32_e32 v[42:43], v42
	v_mul_f64_e32 v[4:5], s[2:3], v[4:5]
	s_delay_alu instid0(VALU_DEP_3) | instskip(SKIP_2) | instid1(VALU_DEP_3)
	v_mov_b32_e32 v31, v14
	v_lshlrev_b64_e32 v[14:15], 3, v[28:29]
	v_mul_f64_e32 v[12:13], s[2:3], v[12:13]
	v_lshlrev_b64_e32 v[30:31], 3, v[30:31]
	v_cvt_f32_f64_e32 v28, v[16:17]
	v_add_nc_u32_e32 v16, 0x1000, v172
	v_add_co_u32 v32, s0, s8, v14
	s_wait_alu 0xf1ff
	v_add_co_ci_u32_e64 v37, s0, s9, v15, s0
	ds_load_2addr_b64 v[14:17], v16 offset0:13 offset1:138
	v_cvt_f32_f64_e32 v29, v[0:1]
	v_add_co_u32 v0, s0, v32, v30
	v_cvt_f32_f64_e32 v30, v[18:19]
	v_add_nc_u32_e32 v18, 0x2800, v172
	s_wait_alu 0xf1ff
	v_add_co_ci_u32_e64 v1, s0, v37, v31, s0
	v_cvt_f32_f64_e32 v31, v[20:21]
	v_cvt_f32_f64_e32 v22, v[22:23]
	ds_load_2addr_b64 v[18:21], v18 offset0:45 offset1:170
	v_cvt_f32_f64_e32 v23, v[24:25]
	v_mul_f32_e32 v32, v134, v3
	v_cvt_f32_f64_e32 v6, v[6:7]
	v_cvt_f32_f64_e32 v7, v[26:27]
	s_wait_dscnt 0x1
	v_mul_f32_e32 v47, v125, v16
	v_cvt_f64_f32_e32 v[33:34], v34
	v_mul_f64_e32 v[26:27], s[2:3], v[35:36]
	v_mul_f32_e32 v35, v136, v14
	v_fmac_f32_e32 v32, v133, v2
	v_mul_f32_e32 v36, v132, v11
	v_mul_f32_e32 v46, v125, v17
	v_fma_f32 v47, v124, v17, -v47
	v_fma_f32 v35, v135, v15, -v35
	s_mul_u64 s[0:1], s[4:5], 0x190
	v_fmac_f32_e32 v36, v131, v10
	v_mul_f32_e32 v10, v132, v10
	v_fmac_f32_e32 v46, v124, v16
	v_cvt_f64_f32_e32 v[16:17], v45
	s_wait_alu 0xfffe
	s_lshl_b64 s[6:7], s[0:1], 3
	s_wait_dscnt 0x0
	v_mul_f32_e32 v38, v142, v19
	v_mul_f32_e32 v39, v142, v18
	;; [unrolled: 1-line block ×3, first 2 shown]
	v_fma_f32 v10, v131, v11, -v10
	v_cvt_f64_f32_e32 v[36:37], v36
	v_fmac_f32_e32 v38, v141, v18
	v_fma_f32 v18, v141, v19, -v39
	v_mul_f32_e32 v50, v127, v21
	v_cvt_f64_f32_e32 v[10:11], v10
	v_fma_f32 v51, v126, v21, -v51
	v_cvt_f64_f32_e32 v[8:9], v38
	v_cvt_f64_f32_e32 v[38:39], v40
	ds_load_b64 v[40:41], v172 offset:14800
	v_cvt_f64_f32_e32 v[18:19], v18
	v_fmac_f32_e32 v50, v126, v20
	v_cvt_f64_f32_e32 v[44:45], v46
	v_cvt_f64_f32_e32 v[46:47], v47
	s_wait_alu 0xfffe
	v_add_co_u32 v54, s0, v0, s6
	v_cvt_f64_f32_e32 v[20:21], v50
	s_wait_alu 0xf1ff
	v_add_co_ci_u32_e64 v55, s0, s7, v1, s0
	s_delay_alu instid0(VALU_DEP_3)
	v_add_co_u32 v56, s0, v54, s6
	v_mul_f64_e32 v[24:25], s[2:3], v[33:34]
	v_dual_mul_f32 v33, v134, v2 :: v_dual_mul_f32 v34, v136, v15
	s_wait_alu 0xf1ff
	v_add_co_ci_u32_e64 v57, s0, s7, v55, s0
	v_add_co_u32 v58, s0, v56, s6
	s_delay_alu instid0(VALU_DEP_3)
	v_fma_f32 v33, v133, v3, -v33
	v_fmac_f32_e32 v34, v135, v14
	v_cvt_f64_f32_e32 v[2:3], v32
	s_wait_dscnt 0x0
	v_mul_f32_e32 v52, v140, v41
	v_mul_f32_e32 v53, v140, v40
	v_cvt_f64_f32_e32 v[14:15], v33
	v_cvt_f64_f32_e32 v[32:33], v34
	;; [unrolled: 1-line block ×3, first 2 shown]
	v_fmac_f32_e32 v52, v139, v40
	v_fma_f32 v53, v139, v41, -v53
	v_cvt_f64_f32_e32 v[40:41], v51
	s_wait_alu 0xf1ff
	v_add_co_ci_u32_e64 v59, s0, s7, v57, s0
	v_cvt_f64_f32_e32 v[50:51], v52
	v_cvt_f64_f32_e32 v[52:53], v53
	s_clause 0x3
	global_store_b64 v[0:1], v[28:29], off
	global_store_b64 v[54:55], v[30:31], off
	;; [unrolled: 1-line block ×4, first 2 shown]
	v_mul_f64_e32 v[0:1], s[2:3], v[36:37]
	v_mul_f64_e32 v[6:7], s[2:3], v[10:11]
	;; [unrolled: 1-line block ×6, first 2 shown]
	v_cvt_f32_f64_e32 v19, v[26:27]
	v_mul_f64_e32 v[26:27], s[2:3], v[44:45]
	v_mul_f64_e32 v[28:29], s[2:3], v[46:47]
	;; [unrolled: 1-line block ×4, first 2 shown]
	v_cvt_f32_f64_e32 v4, v[4:5]
	v_cvt_f32_f64_e32 v18, v[24:25]
	v_mul_f64_e32 v[24:25], s[2:3], v[42:43]
	v_add_co_u32 v42, s0, v58, s6
	s_wait_alu 0xf1ff
	v_add_co_ci_u32_e64 v43, s0, s7, v59, s0
	s_movk_i32 s0, 0xfa3d
	s_mov_b32 s1, -1
	v_mul_f64_e32 v[2:3], s[2:3], v[2:3]
	s_wait_alu 0xfffe
	s_mul_u64 s[0:1], s[4:5], s[0:1]
	v_mul_f64_e32 v[14:15], s[2:3], v[14:15]
	v_mul_f64_e32 v[32:33], s[2:3], v[32:33]
	;; [unrolled: 1-line block ×3, first 2 shown]
	s_wait_alu 0xfffe
	s_lshl_b64 s[4:5], s[0:1], 3
	v_mul_f64_e32 v[36:37], s[2:3], v[40:41]
	v_mul_f64_e32 v[38:39], s[2:3], v[50:51]
	;; [unrolled: 1-line block ×3, first 2 shown]
	v_cvt_f32_f64_e32 v0, v[0:1]
	v_cvt_f32_f64_e32 v1, v[6:7]
	;; [unrolled: 1-line block ×11, first 2 shown]
	global_store_b64 v[42:43], v[18:19], off
	v_cvt_f32_f64_e32 v11, v[24:25]
	v_cvt_f32_f64_e32 v2, v[2:3]
	;; [unrolled: 1-line block ×5, first 2 shown]
	s_wait_alu 0xfffe
	v_add_co_u32 v14, s0, v42, s4
	s_wait_alu 0xf1ff
	v_add_co_ci_u32_e64 v15, s0, s5, v43, s0
	v_cvt_f32_f64_e32 v13, v[36:37]
	s_delay_alu instid0(VALU_DEP_3) | instskip(SKIP_1) | instid1(VALU_DEP_3)
	v_add_co_u32 v34, s0, v14, s6
	s_wait_alu 0xf1ff
	v_add_co_ci_u32_e64 v35, s0, s7, v15, s0
	v_cvt_f32_f64_e32 v20, v[38:39]
	s_delay_alu instid0(VALU_DEP_3) | instskip(SKIP_1) | instid1(VALU_DEP_3)
	v_add_co_u32 v8, s0, v34, s6
	s_wait_alu 0xf1ff
	v_add_co_ci_u32_e64 v9, s0, s7, v35, s0
	v_cvt_f32_f64_e32 v21, v[40:41]
	s_delay_alu instid0(VALU_DEP_3) | instskip(SKIP_1) | instid1(VALU_DEP_3)
	v_add_co_u32 v24, s0, v8, s6
	s_wait_alu 0xf1ff
	v_add_co_ci_u32_e64 v25, s0, s7, v9, s0
	s_delay_alu instid0(VALU_DEP_2) | instskip(SKIP_1) | instid1(VALU_DEP_2)
	v_add_co_u32 v18, s0, v24, s6
	s_wait_alu 0xf1ff
	v_add_co_ci_u32_e64 v19, s0, s7, v25, s0
	global_store_b64 v[14:15], v[2:3], off
	v_add_co_u32 v2, s0, v18, s4
	s_wait_alu 0xf1ff
	v_add_co_ci_u32_e64 v3, s0, s5, v19, s0
	global_store_b64 v[34:35], v[32:33], off
	;; [unrolled: 4-line block ×6, first 2 shown]
	global_store_b64 v[14:15], v[16:17], off
	global_store_b64 v[8:9], v[22:23], off
	;; [unrolled: 1-line block ×4, first 2 shown]
	s_and_b32 exec_lo, exec_lo, vcc_lo
	s_cbranch_execz .LBB0_31
; %bb.30:
	global_load_b64 v[2:3], v[120:121], off offset:3000
	ds_load_b64 v[4:5], v172 offset:3000
	ds_load_b64 v[6:7], v172 offset:6200
	;; [unrolled: 1-line block ×4, first 2 shown]
	v_add_co_u32 v0, vcc_lo, v0, s4
	s_wait_alu 0xfffd
	v_add_co_ci_u32_e32 v1, vcc_lo, s5, v1, vcc_lo
	s_wait_loadcnt_dscnt 0x3
	v_mul_f32_e32 v12, v5, v3
	v_mul_f32_e32 v3, v4, v3
	s_delay_alu instid0(VALU_DEP_2) | instskip(NEXT) | instid1(VALU_DEP_2)
	v_fmac_f32_e32 v12, v4, v2
	v_fma_f32 v4, v2, v5, -v3
	s_delay_alu instid0(VALU_DEP_2) | instskip(NEXT) | instid1(VALU_DEP_2)
	v_cvt_f64_f32_e32 v[2:3], v12
	v_cvt_f64_f32_e32 v[4:5], v4
	s_delay_alu instid0(VALU_DEP_2) | instskip(NEXT) | instid1(VALU_DEP_2)
	v_mul_f64_e32 v[2:3], s[2:3], v[2:3]
	v_mul_f64_e32 v[4:5], s[2:3], v[4:5]
	s_delay_alu instid0(VALU_DEP_2) | instskip(NEXT) | instid1(VALU_DEP_2)
	v_cvt_f32_f64_e32 v2, v[2:3]
	v_cvt_f32_f64_e32 v3, v[4:5]
	global_store_b64 v[0:1], v[2:3], off
	global_load_b64 v[2:3], v[120:121], off offset:6200
	v_add_co_u32 v0, vcc_lo, v0, s6
	s_wait_alu 0xfffd
	v_add_co_ci_u32_e32 v1, vcc_lo, s7, v1, vcc_lo
	s_wait_loadcnt_dscnt 0x2
	v_mul_f32_e32 v4, v7, v3
	v_mul_f32_e32 v3, v6, v3
	s_delay_alu instid0(VALU_DEP_2) | instskip(NEXT) | instid1(VALU_DEP_2)
	v_fmac_f32_e32 v4, v6, v2
	v_fma_f32 v5, v2, v7, -v3
	s_delay_alu instid0(VALU_DEP_2) | instskip(NEXT) | instid1(VALU_DEP_2)
	v_cvt_f64_f32_e32 v[2:3], v4
	v_cvt_f64_f32_e32 v[4:5], v5
	s_delay_alu instid0(VALU_DEP_2) | instskip(NEXT) | instid1(VALU_DEP_2)
	v_mul_f64_e32 v[2:3], s[2:3], v[2:3]
	v_mul_f64_e32 v[4:5], s[2:3], v[4:5]
	s_delay_alu instid0(VALU_DEP_2) | instskip(NEXT) | instid1(VALU_DEP_2)
	v_cvt_f32_f64_e32 v2, v[2:3]
	v_cvt_f32_f64_e32 v3, v[4:5]
	global_store_b64 v[0:1], v[2:3], off
	global_load_b64 v[2:3], v[120:121], off offset:9400
	;; [unrolled: 20-line block ×3, first 2 shown]
	v_add_co_u32 v0, vcc_lo, v0, s6
	s_wait_alu 0xfffd
	v_add_co_ci_u32_e32 v1, vcc_lo, s7, v1, vcc_lo
	s_wait_loadcnt_dscnt 0x0
	v_mul_f32_e32 v4, v11, v3
	v_mul_f32_e32 v3, v10, v3
	s_delay_alu instid0(VALU_DEP_2) | instskip(NEXT) | instid1(VALU_DEP_2)
	v_fmac_f32_e32 v4, v10, v2
	v_fma_f32 v5, v2, v11, -v3
	s_delay_alu instid0(VALU_DEP_2) | instskip(NEXT) | instid1(VALU_DEP_2)
	v_cvt_f64_f32_e32 v[2:3], v4
	v_cvt_f64_f32_e32 v[4:5], v5
	s_delay_alu instid0(VALU_DEP_2) | instskip(NEXT) | instid1(VALU_DEP_2)
	v_mul_f64_e32 v[2:3], s[2:3], v[2:3]
	v_mul_f64_e32 v[4:5], s[2:3], v[4:5]
	s_delay_alu instid0(VALU_DEP_2) | instskip(NEXT) | instid1(VALU_DEP_2)
	v_cvt_f32_f64_e32 v2, v[2:3]
	v_cvt_f32_f64_e32 v3, v[4:5]
	ds_load_b64 v[4:5], v172 offset:15800
	global_store_b64 v[0:1], v[2:3], off
	global_load_b64 v[2:3], v[120:121], off offset:15800
	v_add_co_u32 v0, vcc_lo, v0, s6
	s_wait_alu 0xfffd
	v_add_co_ci_u32_e32 v1, vcc_lo, s7, v1, vcc_lo
	s_wait_loadcnt_dscnt 0x0
	v_mul_f32_e32 v6, v5, v3
	v_mul_f32_e32 v3, v4, v3
	s_delay_alu instid0(VALU_DEP_2) | instskip(NEXT) | instid1(VALU_DEP_2)
	v_fmac_f32_e32 v6, v4, v2
	v_fma_f32 v4, v2, v5, -v3
	s_delay_alu instid0(VALU_DEP_2) | instskip(NEXT) | instid1(VALU_DEP_2)
	v_cvt_f64_f32_e32 v[2:3], v6
	v_cvt_f64_f32_e32 v[4:5], v4
	s_delay_alu instid0(VALU_DEP_2) | instskip(NEXT) | instid1(VALU_DEP_2)
	v_mul_f64_e32 v[2:3], s[2:3], v[2:3]
	v_mul_f64_e32 v[4:5], s[2:3], v[4:5]
	s_delay_alu instid0(VALU_DEP_2) | instskip(NEXT) | instid1(VALU_DEP_2)
	v_cvt_f32_f64_e32 v2, v[2:3]
	v_cvt_f32_f64_e32 v3, v[4:5]
	global_store_b64 v[0:1], v[2:3], off
.LBB0_31:
	s_nop 0
	s_sendmsg sendmsg(MSG_DEALLOC_VGPRS)
	s_endpgm
	.section	.rodata,"a",@progbits
	.p2align	6, 0x0
	.amdhsa_kernel bluestein_single_fwd_len2000_dim1_sp_op_CI_CI
		.amdhsa_group_segment_fixed_size 16000
		.amdhsa_private_segment_fixed_size 0
		.amdhsa_kernarg_size 104
		.amdhsa_user_sgpr_count 2
		.amdhsa_user_sgpr_dispatch_ptr 0
		.amdhsa_user_sgpr_queue_ptr 0
		.amdhsa_user_sgpr_kernarg_segment_ptr 1
		.amdhsa_user_sgpr_dispatch_id 0
		.amdhsa_user_sgpr_private_segment_size 0
		.amdhsa_wavefront_size32 1
		.amdhsa_uses_dynamic_stack 0
		.amdhsa_enable_private_segment 0
		.amdhsa_system_sgpr_workgroup_id_x 1
		.amdhsa_system_sgpr_workgroup_id_y 0
		.amdhsa_system_sgpr_workgroup_id_z 0
		.amdhsa_system_sgpr_workgroup_info 0
		.amdhsa_system_vgpr_workitem_id 0
		.amdhsa_next_free_vgpr 229
		.amdhsa_next_free_sgpr 18
		.amdhsa_reserve_vcc 1
		.amdhsa_float_round_mode_32 0
		.amdhsa_float_round_mode_16_64 0
		.amdhsa_float_denorm_mode_32 3
		.amdhsa_float_denorm_mode_16_64 3
		.amdhsa_fp16_overflow 0
		.amdhsa_workgroup_processor_mode 1
		.amdhsa_memory_ordered 1
		.amdhsa_forward_progress 0
		.amdhsa_round_robin_scheduling 0
		.amdhsa_exception_fp_ieee_invalid_op 0
		.amdhsa_exception_fp_denorm_src 0
		.amdhsa_exception_fp_ieee_div_zero 0
		.amdhsa_exception_fp_ieee_overflow 0
		.amdhsa_exception_fp_ieee_underflow 0
		.amdhsa_exception_fp_ieee_inexact 0
		.amdhsa_exception_int_div_zero 0
	.end_amdhsa_kernel
	.text
.Lfunc_end0:
	.size	bluestein_single_fwd_len2000_dim1_sp_op_CI_CI, .Lfunc_end0-bluestein_single_fwd_len2000_dim1_sp_op_CI_CI
                                        ; -- End function
	.section	.AMDGPU.csdata,"",@progbits
; Kernel info:
; codeLenInByte = 21248
; NumSgprs: 20
; NumVgprs: 229
; ScratchSize: 0
; MemoryBound: 0
; FloatMode: 240
; IeeeMode: 1
; LDSByteSize: 16000 bytes/workgroup (compile time only)
; SGPRBlocks: 2
; VGPRBlocks: 28
; NumSGPRsForWavesPerEU: 20
; NumVGPRsForWavesPerEU: 229
; Occupancy: 6
; WaveLimiterHint : 1
; COMPUTE_PGM_RSRC2:SCRATCH_EN: 0
; COMPUTE_PGM_RSRC2:USER_SGPR: 2
; COMPUTE_PGM_RSRC2:TRAP_HANDLER: 0
; COMPUTE_PGM_RSRC2:TGID_X_EN: 1
; COMPUTE_PGM_RSRC2:TGID_Y_EN: 0
; COMPUTE_PGM_RSRC2:TGID_Z_EN: 0
; COMPUTE_PGM_RSRC2:TIDIG_COMP_CNT: 0
	.text
	.p2alignl 7, 3214868480
	.fill 96, 4, 3214868480
	.type	__hip_cuid_36e4c7626fb8aa71,@object ; @__hip_cuid_36e4c7626fb8aa71
	.section	.bss,"aw",@nobits
	.globl	__hip_cuid_36e4c7626fb8aa71
__hip_cuid_36e4c7626fb8aa71:
	.byte	0                               ; 0x0
	.size	__hip_cuid_36e4c7626fb8aa71, 1

	.ident	"AMD clang version 19.0.0git (https://github.com/RadeonOpenCompute/llvm-project roc-6.4.0 25133 c7fe45cf4b819c5991fe208aaa96edf142730f1d)"
	.section	".note.GNU-stack","",@progbits
	.addrsig
	.addrsig_sym __hip_cuid_36e4c7626fb8aa71
	.amdgpu_metadata
---
amdhsa.kernels:
  - .args:
      - .actual_access:  read_only
        .address_space:  global
        .offset:         0
        .size:           8
        .value_kind:     global_buffer
      - .actual_access:  read_only
        .address_space:  global
        .offset:         8
        .size:           8
        .value_kind:     global_buffer
      - .actual_access:  read_only
        .address_space:  global
        .offset:         16
        .size:           8
        .value_kind:     global_buffer
      - .actual_access:  read_only
        .address_space:  global
        .offset:         24
        .size:           8
        .value_kind:     global_buffer
      - .actual_access:  read_only
        .address_space:  global
        .offset:         32
        .size:           8
        .value_kind:     global_buffer
      - .offset:         40
        .size:           8
        .value_kind:     by_value
      - .address_space:  global
        .offset:         48
        .size:           8
        .value_kind:     global_buffer
      - .address_space:  global
        .offset:         56
        .size:           8
        .value_kind:     global_buffer
      - .address_space:  global
        .offset:         64
        .size:           8
        .value_kind:     global_buffer
      - .address_space:  global
        .offset:         72
        .size:           8
        .value_kind:     global_buffer
      - .offset:         80
        .size:           4
        .value_kind:     by_value
      - .address_space:  global
        .offset:         88
        .size:           8
        .value_kind:     global_buffer
      - .address_space:  global
        .offset:         96
        .size:           8
        .value_kind:     global_buffer
    .group_segment_fixed_size: 16000
    .kernarg_segment_align: 8
    .kernarg_segment_size: 104
    .language:       OpenCL C
    .language_version:
      - 2
      - 0
    .max_flat_workgroup_size: 125
    .name:           bluestein_single_fwd_len2000_dim1_sp_op_CI_CI
    .private_segment_fixed_size: 0
    .sgpr_count:     20
    .sgpr_spill_count: 0
    .symbol:         bluestein_single_fwd_len2000_dim1_sp_op_CI_CI.kd
    .uniform_work_group_size: 1
    .uses_dynamic_stack: false
    .vgpr_count:     229
    .vgpr_spill_count: 0
    .wavefront_size: 32
    .workgroup_processor_mode: 1
amdhsa.target:   amdgcn-amd-amdhsa--gfx1201
amdhsa.version:
  - 1
  - 2
...

	.end_amdgpu_metadata
